;; amdgpu-corpus repo=ROCm/rocFFT kind=compiled arch=gfx1201 opt=O3
	.text
	.amdgcn_target "amdgcn-amd-amdhsa--gfx1201"
	.amdhsa_code_object_version 6
	.protected	fft_rtc_back_len816_factors_17_2_3_2_2_2_wgs_51_tpt_51_halfLds_half_ip_CI_sbrr_dirReg ; -- Begin function fft_rtc_back_len816_factors_17_2_3_2_2_2_wgs_51_tpt_51_halfLds_half_ip_CI_sbrr_dirReg
	.globl	fft_rtc_back_len816_factors_17_2_3_2_2_2_wgs_51_tpt_51_halfLds_half_ip_CI_sbrr_dirReg
	.p2align	8
	.type	fft_rtc_back_len816_factors_17_2_3_2_2_2_wgs_51_tpt_51_halfLds_half_ip_CI_sbrr_dirReg,@function
fft_rtc_back_len816_factors_17_2_3_2_2_2_wgs_51_tpt_51_halfLds_half_ip_CI_sbrr_dirReg: ; @fft_rtc_back_len816_factors_17_2_3_2_2_2_wgs_51_tpt_51_halfLds_half_ip_CI_sbrr_dirReg
; %bb.0:
	s_clause 0x2
	s_load_b64 s[12:13], s[0:1], 0x18
	s_load_b128 s[4:7], s[0:1], 0x0
	s_load_b64 s[10:11], s[0:1], 0x50
	v_mul_u32_u24_e32 v1, 0x506, v0
	v_mov_b32_e32 v3, 0
	s_delay_alu instid0(VALU_DEP_2) | instskip(NEXT) | instid1(VALU_DEP_1)
	v_lshrrev_b32_e32 v1, 16, v1
	v_add_nc_u32_e32 v5, ttmp9, v1
	v_mov_b32_e32 v1, 0
	v_mov_b32_e32 v2, 0
	;; [unrolled: 1-line block ×3, first 2 shown]
	s_wait_kmcnt 0x0
	s_load_b64 s[8:9], s[12:13], 0x0
	v_cmp_lt_u64_e64 s2, s[6:7], 2
	s_delay_alu instid0(VALU_DEP_1)
	s_and_b32 vcc_lo, exec_lo, s2
	s_cbranch_vccnz .LBB0_8
; %bb.1:
	s_load_b64 s[2:3], s[0:1], 0x10
	v_mov_b32_e32 v1, 0
	v_mov_b32_e32 v2, 0
	s_add_nc_u64 s[14:15], s[12:13], 8
	s_mov_b64 s[16:17], 1
	s_wait_kmcnt 0x0
	s_add_nc_u64 s[18:19], s[2:3], 8
	s_mov_b32 s3, 0
.LBB0_2:                                ; =>This Inner Loop Header: Depth=1
	s_load_b64 s[20:21], s[18:19], 0x0
                                        ; implicit-def: $vgpr7_vgpr8
	s_mov_b32 s2, exec_lo
	s_wait_kmcnt 0x0
	v_or_b32_e32 v4, s21, v6
	s_delay_alu instid0(VALU_DEP_1)
	v_cmpx_ne_u64_e32 0, v[3:4]
	s_wait_alu 0xfffe
	s_xor_b32 s22, exec_lo, s2
	s_cbranch_execz .LBB0_4
; %bb.3:                                ;   in Loop: Header=BB0_2 Depth=1
	s_cvt_f32_u32 s2, s20
	s_cvt_f32_u32 s23, s21
	s_sub_nc_u64 s[26:27], 0, s[20:21]
	s_wait_alu 0xfffe
	s_delay_alu instid0(SALU_CYCLE_1) | instskip(SKIP_1) | instid1(SALU_CYCLE_2)
	s_fmamk_f32 s2, s23, 0x4f800000, s2
	s_wait_alu 0xfffe
	v_s_rcp_f32 s2, s2
	s_delay_alu instid0(TRANS32_DEP_1) | instskip(SKIP_1) | instid1(SALU_CYCLE_2)
	s_mul_f32 s2, s2, 0x5f7ffffc
	s_wait_alu 0xfffe
	s_mul_f32 s23, s2, 0x2f800000
	s_wait_alu 0xfffe
	s_delay_alu instid0(SALU_CYCLE_2) | instskip(SKIP_1) | instid1(SALU_CYCLE_2)
	s_trunc_f32 s23, s23
	s_wait_alu 0xfffe
	s_fmamk_f32 s2, s23, 0xcf800000, s2
	s_cvt_u32_f32 s25, s23
	s_wait_alu 0xfffe
	s_delay_alu instid0(SALU_CYCLE_1) | instskip(SKIP_1) | instid1(SALU_CYCLE_2)
	s_cvt_u32_f32 s24, s2
	s_wait_alu 0xfffe
	s_mul_u64 s[28:29], s[26:27], s[24:25]
	s_wait_alu 0xfffe
	s_mul_hi_u32 s31, s24, s29
	s_mul_i32 s30, s24, s29
	s_mul_hi_u32 s2, s24, s28
	s_mul_i32 s33, s25, s28
	s_wait_alu 0xfffe
	s_add_nc_u64 s[30:31], s[2:3], s[30:31]
	s_mul_hi_u32 s23, s25, s28
	s_mul_hi_u32 s34, s25, s29
	s_add_co_u32 s2, s30, s33
	s_wait_alu 0xfffe
	s_add_co_ci_u32 s2, s31, s23
	s_mul_i32 s28, s25, s29
	s_add_co_ci_u32 s29, s34, 0
	s_wait_alu 0xfffe
	s_add_nc_u64 s[28:29], s[2:3], s[28:29]
	s_wait_alu 0xfffe
	v_add_co_u32 v4, s2, s24, s28
	s_delay_alu instid0(VALU_DEP_1) | instskip(SKIP_1) | instid1(VALU_DEP_1)
	s_cmp_lg_u32 s2, 0
	s_add_co_ci_u32 s25, s25, s29
	v_readfirstlane_b32 s24, v4
	s_wait_alu 0xfffe
	s_delay_alu instid0(VALU_DEP_1)
	s_mul_u64 s[26:27], s[26:27], s[24:25]
	s_wait_alu 0xfffe
	s_mul_hi_u32 s29, s24, s27
	s_mul_i32 s28, s24, s27
	s_mul_hi_u32 s2, s24, s26
	s_mul_i32 s30, s25, s26
	s_wait_alu 0xfffe
	s_add_nc_u64 s[28:29], s[2:3], s[28:29]
	s_mul_hi_u32 s23, s25, s26
	s_mul_hi_u32 s24, s25, s27
	s_wait_alu 0xfffe
	s_add_co_u32 s2, s28, s30
	s_add_co_ci_u32 s2, s29, s23
	s_mul_i32 s26, s25, s27
	s_add_co_ci_u32 s27, s24, 0
	s_wait_alu 0xfffe
	s_add_nc_u64 s[26:27], s[2:3], s[26:27]
	s_wait_alu 0xfffe
	v_add_co_u32 v4, s2, v4, s26
	s_delay_alu instid0(VALU_DEP_1) | instskip(SKIP_1) | instid1(VALU_DEP_1)
	s_cmp_lg_u32 s2, 0
	s_add_co_ci_u32 s2, s25, s27
	v_mul_hi_u32 v13, v5, v4
	s_wait_alu 0xfffe
	v_mad_co_u64_u32 v[7:8], null, v5, s2, 0
	v_mad_co_u64_u32 v[9:10], null, v6, v4, 0
	;; [unrolled: 1-line block ×3, first 2 shown]
	s_delay_alu instid0(VALU_DEP_3) | instskip(SKIP_1) | instid1(VALU_DEP_4)
	v_add_co_u32 v4, vcc_lo, v13, v7
	s_wait_alu 0xfffd
	v_add_co_ci_u32_e32 v7, vcc_lo, 0, v8, vcc_lo
	s_delay_alu instid0(VALU_DEP_2) | instskip(SKIP_1) | instid1(VALU_DEP_2)
	v_add_co_u32 v4, vcc_lo, v4, v9
	s_wait_alu 0xfffd
	v_add_co_ci_u32_e32 v4, vcc_lo, v7, v10, vcc_lo
	s_wait_alu 0xfffd
	v_add_co_ci_u32_e32 v7, vcc_lo, 0, v12, vcc_lo
	s_delay_alu instid0(VALU_DEP_2) | instskip(SKIP_1) | instid1(VALU_DEP_2)
	v_add_co_u32 v4, vcc_lo, v4, v11
	s_wait_alu 0xfffd
	v_add_co_ci_u32_e32 v9, vcc_lo, 0, v7, vcc_lo
	s_delay_alu instid0(VALU_DEP_2) | instskip(SKIP_1) | instid1(VALU_DEP_3)
	v_mul_lo_u32 v10, s21, v4
	v_mad_co_u64_u32 v[7:8], null, s20, v4, 0
	v_mul_lo_u32 v11, s20, v9
	s_delay_alu instid0(VALU_DEP_2) | instskip(NEXT) | instid1(VALU_DEP_2)
	v_sub_co_u32 v7, vcc_lo, v5, v7
	v_add3_u32 v8, v8, v11, v10
	s_delay_alu instid0(VALU_DEP_1) | instskip(SKIP_1) | instid1(VALU_DEP_1)
	v_sub_nc_u32_e32 v10, v6, v8
	s_wait_alu 0xfffd
	v_subrev_co_ci_u32_e64 v10, s2, s21, v10, vcc_lo
	v_add_co_u32 v11, s2, v4, 2
	s_wait_alu 0xf1ff
	v_add_co_ci_u32_e64 v12, s2, 0, v9, s2
	v_sub_co_u32 v13, s2, v7, s20
	v_sub_co_ci_u32_e32 v8, vcc_lo, v6, v8, vcc_lo
	s_wait_alu 0xf1ff
	v_subrev_co_ci_u32_e64 v10, s2, 0, v10, s2
	s_delay_alu instid0(VALU_DEP_3) | instskip(NEXT) | instid1(VALU_DEP_3)
	v_cmp_le_u32_e32 vcc_lo, s20, v13
	v_cmp_eq_u32_e64 s2, s21, v8
	s_wait_alu 0xfffd
	v_cndmask_b32_e64 v13, 0, -1, vcc_lo
	v_cmp_le_u32_e32 vcc_lo, s21, v10
	s_wait_alu 0xfffd
	v_cndmask_b32_e64 v14, 0, -1, vcc_lo
	v_cmp_le_u32_e32 vcc_lo, s20, v7
	;; [unrolled: 3-line block ×3, first 2 shown]
	s_wait_alu 0xfffd
	v_cndmask_b32_e64 v15, 0, -1, vcc_lo
	v_cmp_eq_u32_e32 vcc_lo, s21, v10
	s_wait_alu 0xf1ff
	s_delay_alu instid0(VALU_DEP_2)
	v_cndmask_b32_e64 v7, v15, v7, s2
	s_wait_alu 0xfffd
	v_cndmask_b32_e32 v10, v14, v13, vcc_lo
	v_add_co_u32 v13, vcc_lo, v4, 1
	s_wait_alu 0xfffd
	v_add_co_ci_u32_e32 v14, vcc_lo, 0, v9, vcc_lo
	s_delay_alu instid0(VALU_DEP_3) | instskip(SKIP_2) | instid1(VALU_DEP_3)
	v_cmp_ne_u32_e32 vcc_lo, 0, v10
	s_wait_alu 0xfffd
	v_cndmask_b32_e32 v10, v13, v11, vcc_lo
	v_cndmask_b32_e32 v8, v14, v12, vcc_lo
	v_cmp_ne_u32_e32 vcc_lo, 0, v7
	s_wait_alu 0xfffd
	s_delay_alu instid0(VALU_DEP_2)
	v_dual_cndmask_b32 v7, v4, v10 :: v_dual_cndmask_b32 v8, v9, v8
.LBB0_4:                                ;   in Loop: Header=BB0_2 Depth=1
	s_wait_alu 0xfffe
	s_and_not1_saveexec_b32 s2, s22
	s_cbranch_execz .LBB0_6
; %bb.5:                                ;   in Loop: Header=BB0_2 Depth=1
	v_cvt_f32_u32_e32 v4, s20
	s_sub_co_i32 s22, 0, s20
	s_delay_alu instid0(VALU_DEP_1) | instskip(NEXT) | instid1(TRANS32_DEP_1)
	v_rcp_iflag_f32_e32 v4, v4
	v_mul_f32_e32 v4, 0x4f7ffffe, v4
	s_delay_alu instid0(VALU_DEP_1) | instskip(SKIP_1) | instid1(VALU_DEP_1)
	v_cvt_u32_f32_e32 v4, v4
	s_wait_alu 0xfffe
	v_mul_lo_u32 v7, s22, v4
	s_delay_alu instid0(VALU_DEP_1) | instskip(NEXT) | instid1(VALU_DEP_1)
	v_mul_hi_u32 v7, v4, v7
	v_add_nc_u32_e32 v4, v4, v7
	s_delay_alu instid0(VALU_DEP_1) | instskip(NEXT) | instid1(VALU_DEP_1)
	v_mul_hi_u32 v4, v5, v4
	v_mul_lo_u32 v7, v4, s20
	v_add_nc_u32_e32 v8, 1, v4
	s_delay_alu instid0(VALU_DEP_2) | instskip(NEXT) | instid1(VALU_DEP_1)
	v_sub_nc_u32_e32 v7, v5, v7
	v_subrev_nc_u32_e32 v9, s20, v7
	v_cmp_le_u32_e32 vcc_lo, s20, v7
	s_wait_alu 0xfffd
	s_delay_alu instid0(VALU_DEP_2) | instskip(NEXT) | instid1(VALU_DEP_1)
	v_dual_cndmask_b32 v7, v7, v9 :: v_dual_cndmask_b32 v4, v4, v8
	v_cmp_le_u32_e32 vcc_lo, s20, v7
	s_delay_alu instid0(VALU_DEP_2) | instskip(SKIP_1) | instid1(VALU_DEP_1)
	v_add_nc_u32_e32 v8, 1, v4
	s_wait_alu 0xfffd
	v_dual_cndmask_b32 v7, v4, v8 :: v_dual_mov_b32 v8, v3
.LBB0_6:                                ;   in Loop: Header=BB0_2 Depth=1
	s_wait_alu 0xfffe
	s_or_b32 exec_lo, exec_lo, s2
	s_load_b64 s[22:23], s[14:15], 0x0
	s_delay_alu instid0(VALU_DEP_1)
	v_mul_lo_u32 v4, v8, s20
	v_mul_lo_u32 v11, v7, s21
	v_mad_co_u64_u32 v[9:10], null, v7, s20, 0
	s_add_nc_u64 s[16:17], s[16:17], 1
	s_add_nc_u64 s[14:15], s[14:15], 8
	s_wait_alu 0xfffe
	v_cmp_ge_u64_e64 s2, s[16:17], s[6:7]
	s_add_nc_u64 s[18:19], s[18:19], 8
	s_delay_alu instid0(VALU_DEP_2) | instskip(NEXT) | instid1(VALU_DEP_3)
	v_add3_u32 v4, v10, v11, v4
	v_sub_co_u32 v5, vcc_lo, v5, v9
	s_wait_alu 0xfffd
	s_delay_alu instid0(VALU_DEP_2) | instskip(SKIP_3) | instid1(VALU_DEP_2)
	v_sub_co_ci_u32_e32 v4, vcc_lo, v6, v4, vcc_lo
	s_and_b32 vcc_lo, exec_lo, s2
	s_wait_kmcnt 0x0
	v_mul_lo_u32 v6, s23, v5
	v_mul_lo_u32 v4, s22, v4
	v_mad_co_u64_u32 v[1:2], null, s22, v5, v[1:2]
	s_delay_alu instid0(VALU_DEP_1)
	v_add3_u32 v2, v6, v2, v4
	s_wait_alu 0xfffe
	s_cbranch_vccnz .LBB0_9
; %bb.7:                                ;   in Loop: Header=BB0_2 Depth=1
	v_dual_mov_b32 v5, v7 :: v_dual_mov_b32 v6, v8
	s_branch .LBB0_2
.LBB0_8:
	v_dual_mov_b32 v8, v6 :: v_dual_mov_b32 v7, v5
.LBB0_9:
	s_lshl_b64 s[2:3], s[6:7], 3
	v_mul_hi_u32 v3, 0x5050506, v0
	s_wait_alu 0xfffe
	s_add_nc_u64 s[2:3], s[12:13], s[2:3]
	v_dual_mov_b32 v21, 0 :: v_dual_mov_b32 v28, 0
	s_load_b64 s[2:3], s[2:3], 0x0
	s_load_b64 s[0:1], s[0:1], 0x20
                                        ; implicit-def: $vgpr27
                                        ; implicit-def: $vgpr19
                                        ; implicit-def: $vgpr26
                                        ; implicit-def: $vgpr20
                                        ; implicit-def: $vgpr25
                                        ; implicit-def: $vgpr16
                                        ; implicit-def: $vgpr24
                                        ; implicit-def: $vgpr17
                                        ; implicit-def: $vgpr23
                                        ; implicit-def: $vgpr14
                                        ; implicit-def: $vgpr22
                                        ; implicit-def: $vgpr6
                                        ; implicit-def: $vgpr18
                                        ; implicit-def: $vgpr15
                                        ; implicit-def: $vgpr29
                                        ; implicit-def: $vgpr13
                                        ; implicit-def: $vgpr30
                                        ; implicit-def: $vgpr12
                                        ; implicit-def: $vgpr31
                                        ; implicit-def: $vgpr11
                                        ; implicit-def: $vgpr32
                                        ; implicit-def: $vgpr10
                                        ; implicit-def: $vgpr33
                                        ; implicit-def: $vgpr9
                                        ; implicit-def: $vgpr34
                                        ; implicit-def: $vgpr35
                                        ; implicit-def: $vgpr36
                                        ; implicit-def: $vgpr37
	s_delay_alu instid0(VALU_DEP_2) | instskip(NEXT) | instid1(VALU_DEP_1)
	v_mul_u32_u24_e32 v3, 51, v3
	v_sub_nc_u32_e32 v0, v0, v3
	s_wait_kmcnt 0x0
	v_mul_lo_u32 v4, s2, v8
	v_mul_lo_u32 v5, s3, v7
	v_mad_co_u64_u32 v[1:2], null, s2, v7, v[1:2]
	v_cmp_gt_u64_e32 vcc_lo, s[0:1], v[7:8]
	v_cmp_gt_u32_e64 s0, 48, v0
                                        ; implicit-def: $vgpr8
                                        ; implicit-def: $vgpr7
	s_delay_alu instid0(VALU_DEP_1) | instskip(NEXT) | instid1(VALU_DEP_3)
	s_and_b32 s1, vcc_lo, s0
	v_add3_u32 v2, v5, v2, v4
                                        ; implicit-def: $vgpr4
                                        ; implicit-def: $vgpr5
	s_delay_alu instid0(VALU_DEP_1)
	v_lshlrev_b64_e32 v[2:3], 2, v[1:2]
	s_wait_alu 0xfffe
	s_and_saveexec_b32 s2, s1
	s_cbranch_execz .LBB0_11
; %bb.10:
	v_mad_co_u64_u32 v[4:5], null, s8, v0, 0
	v_add_nc_u32_e32 v10, 48, v0
	v_add_nc_u32_e32 v13, 0x60, v0
	;; [unrolled: 1-line block ×5, first 2 shown]
	v_add_co_u32 v41, s1, s10, v2
	v_mov_b32_e32 v1, v5
	v_mad_co_u64_u32 v[6:7], null, s8, v10, 0
	v_or_b32_e32 v26, 0x180, v0
	s_wait_alu 0xf1ff
	v_add_co_ci_u32_e64 v42, s1, s11, v3, s1
	v_add_nc_u32_e32 v33, 0x210, v0
	v_add_nc_u32_e32 v22, 0x120, v0
	v_dual_mov_b32 v5, v7 :: v_dual_add_nc_u32 v28, 0x1b0, v0
	v_mad_co_u64_u32 v[7:8], null, s9, v0, v[1:2]
	v_mad_co_u64_u32 v[8:9], null, s8, v13, 0
	s_delay_alu instid0(VALU_DEP_3) | instskip(SKIP_1) | instid1(VALU_DEP_4)
	v_mad_co_u64_u32 v[10:11], null, s9, v10, v[5:6]
	v_mad_co_u64_u32 v[11:12], null, s8, v15, 0
	v_mov_b32_e32 v5, v7
	v_mad_co_u64_u32 v[24:25], null, s8, v28, 0
	v_mov_b32_e32 v1, v9
	v_mov_b32_e32 v7, v10
	s_delay_alu instid0(VALU_DEP_2) | instskip(SKIP_2) | instid1(VALU_DEP_4)
	v_mad_co_u64_u32 v[9:10], null, s9, v13, v[1:2]
	v_or_b32_e32 v10, 0xc0, v0
	v_mov_b32_e32 v1, v12
	v_lshlrev_b64_e32 v[6:7], 2, v[6:7]
	s_delay_alu instid0(VALU_DEP_3) | instskip(NEXT) | instid1(VALU_DEP_3)
	v_mad_co_u64_u32 v[13:14], null, s8, v10, 0
	v_mad_co_u64_u32 v[15:16], null, s9, v15, v[1:2]
	v_lshlrev_b64_e32 v[8:9], 2, v[8:9]
	s_delay_alu instid0(VALU_DEP_2) | instskip(SKIP_1) | instid1(VALU_DEP_2)
	v_dual_mov_b32 v1, v14 :: v_dual_mov_b32 v12, v15
	v_mad_co_u64_u32 v[15:16], null, s8, v19, 0
	v_mad_co_u64_u32 v[17:18], null, s9, v10, v[1:2]
	s_delay_alu instid0(VALU_DEP_3) | instskip(NEXT) | instid1(VALU_DEP_2)
	v_lshlrev_b64_e32 v[10:11], 2, v[11:12]
	v_dual_mov_b32 v1, v16 :: v_dual_mov_b32 v14, v17
	v_mad_co_u64_u32 v[17:18], null, s8, v22, 0
	s_delay_alu instid0(VALU_DEP_2) | instskip(SKIP_1) | instid1(VALU_DEP_4)
	v_mad_co_u64_u32 v[19:20], null, s9, v19, v[1:2]
	v_mad_co_u64_u32 v[20:21], null, s8, v23, 0
	v_lshlrev_b64_e32 v[12:13], 2, v[13:14]
	s_delay_alu instid0(VALU_DEP_3) | instskip(SKIP_1) | instid1(VALU_DEP_2)
	v_dual_mov_b32 v1, v18 :: v_dual_mov_b32 v16, v19
	v_lshlrev_b64_e32 v[4:5], 2, v[4:5]
	v_mad_co_u64_u32 v[18:19], null, s9, v22, v[1:2]
	v_mov_b32_e32 v1, v21
	s_delay_alu instid0(VALU_DEP_4) | instskip(NEXT) | instid1(VALU_DEP_4)
	v_lshlrev_b64_e32 v[14:15], 2, v[15:16]
	v_add_co_u32 v4, s1, v41, v4
	s_wait_alu 0xf1ff
	v_add_co_ci_u32_e64 v5, s1, v42, v5, s1
	v_mad_co_u64_u32 v[21:22], null, s9, v23, v[1:2]
	v_mad_co_u64_u32 v[22:23], null, s8, v26, 0
	v_add_co_u32 v6, s1, v41, v6
	s_wait_alu 0xf1ff
	v_add_co_ci_u32_e64 v7, s1, v42, v7, s1
	v_add_co_u32 v8, s1, v41, v8
	s_wait_alu 0xf1ff
	v_add_co_ci_u32_e64 v9, s1, v42, v9, s1
	v_add_co_u32 v10, s1, v41, v10
	v_mov_b32_e32 v1, v23
	s_wait_alu 0xf1ff
	v_add_co_ci_u32_e64 v11, s1, v42, v11, s1
	v_add_co_u32 v12, s1, v41, v12
	v_lshlrev_b64_e32 v[16:17], 2, v[17:18]
	s_wait_alu 0xf1ff
	v_add_co_ci_u32_e64 v13, s1, v42, v13, s1
	v_lshlrev_b64_e32 v[18:19], 2, v[20:21]
	v_mad_co_u64_u32 v[20:21], null, s9, v26, v[1:2]
	v_add_co_u32 v14, s1, v41, v14
	v_add_nc_u32_e32 v21, 0x1e0, v0
	s_wait_alu 0xf1ff
	v_add_co_ci_u32_e64 v15, s1, v42, v15, s1
	v_add_co_u32 v26, s1, v41, v16
	v_mov_b32_e32 v1, v25
	s_wait_alu 0xf1ff
	v_add_co_ci_u32_e64 v27, s1, v42, v17, s1
	v_mad_co_u64_u32 v[31:32], null, s8, v21, 0
	v_add_co_u32 v29, s1, v41, v18
	s_wait_alu 0xf1ff
	v_add_co_ci_u32_e64 v30, s1, v42, v19, s1
	v_mad_co_u64_u32 v[18:19], null, s9, v28, v[1:2]
	v_mov_b32_e32 v23, v20
	s_clause 0x7
	global_load_b32 v28, v[4:5], off
	global_load_b32 v19, v[6:7], off
	;; [unrolled: 1-line block ×8, first 2 shown]
	v_mov_b32_e32 v1, v32
	v_mad_co_u64_u32 v[9:10], null, s8, v33, 0
	v_lshlrev_b64_e32 v[7:8], 2, v[22:23]
	v_mov_b32_e32 v25, v18
	s_delay_alu instid0(VALU_DEP_4)
	v_mad_co_u64_u32 v[11:12], null, s9, v21, v[1:2]
	v_or_b32_e32 v5, 0x240, v0
	v_add_nc_u32_e32 v15, 0x2a0, v0
	v_mov_b32_e32 v1, v10
	v_lshlrev_b64_e32 v[12:13], 2, v[24:25]
	v_add_co_u32 v7, s1, v41, v7
	v_mad_co_u64_u32 v[21:22], null, s8, v5, 0
	s_wait_alu 0xf1ff
	v_add_co_ci_u32_e64 v8, s1, v42, v8, s1
	v_mov_b32_e32 v32, v11
	v_mad_co_u64_u32 v[10:11], null, s9, v33, v[1:2]
	v_add_co_u32 v11, s1, v41, v12
	s_wait_alu 0xf1ff
	v_add_co_ci_u32_e64 v12, s1, v42, v13, s1
	v_add_nc_u32_e32 v13, 0x270, v0
	v_mov_b32_e32 v1, v22
	v_lshlrev_b64_e32 v[23:24], 2, v[31:32]
	v_lshlrev_b64_e32 v[9:10], 2, v[9:10]
	s_delay_alu instid0(VALU_DEP_4) | instskip(NEXT) | instid1(VALU_DEP_4)
	v_mad_co_u64_u32 v[25:26], null, s8, v13, 0
	v_mad_co_u64_u32 v[29:30], null, s9, v5, v[1:2]
	;; [unrolled: 1-line block ×3, first 2 shown]
	v_add_nc_u32_e32 v5, 0x2d0, v0
	v_add_co_u32 v23, s1, v41, v23
	s_delay_alu instid0(VALU_DEP_4) | instskip(NEXT) | instid1(VALU_DEP_3)
	v_dual_mov_b32 v1, v26 :: v_dual_mov_b32 v22, v29
	v_mad_co_u64_u32 v[32:33], null, s8, v5, 0
	s_wait_alu 0xf1ff
	v_add_co_ci_u32_e64 v24, s1, v42, v24, s1
	s_delay_alu instid0(VALU_DEP_3) | instskip(SKIP_4) | instid1(VALU_DEP_4)
	v_mad_co_u64_u32 v[26:27], null, s9, v13, v[1:2]
	v_mov_b32_e32 v1, v31
	v_or_b32_e32 v13, 0x300, v0
	v_lshlrev_b64_e32 v[21:22], 2, v[21:22]
	v_add_co_u32 v9, s1, v41, v9
	v_mad_co_u64_u32 v[34:35], null, s9, v15, v[1:2]
	s_delay_alu instid0(VALU_DEP_4)
	v_mad_co_u64_u32 v[35:36], null, s8, v13, 0
	v_mov_b32_e32 v1, v33
	v_lshlrev_b64_e32 v[25:26], 2, v[25:26]
	s_wait_alu 0xf1ff
	v_add_co_ci_u32_e64 v10, s1, v42, v10, s1
	v_mov_b32_e32 v31, v34
	v_mad_co_u64_u32 v[33:34], null, s9, v5, v[1:2]
	v_mov_b32_e32 v1, v36
	v_add_co_u32 v21, s1, v41, v21
	s_delay_alu instid0(VALU_DEP_4)
	v_lshlrev_b64_e32 v[29:30], 2, v[30:31]
	s_wait_alu 0xf1ff
	v_add_co_ci_u32_e64 v22, s1, v42, v22, s1
	v_mad_co_u64_u32 v[36:37], null, s9, v13, v[1:2]
	v_add_co_u32 v25, s1, v41, v25
	s_wait_alu 0xf1ff
	v_add_co_ci_u32_e64 v26, s1, v42, v26, s1
	v_lshlrev_b64_e32 v[31:32], 2, v[32:33]
	v_add_co_u32 v37, s1, v41, v29
	s_wait_alu 0xf1ff
	v_add_co_ci_u32_e64 v38, s1, v42, v30, s1
	v_lshlrev_b64_e32 v[29:30], 2, v[35:36]
	s_delay_alu instid0(VALU_DEP_4) | instskip(SKIP_2) | instid1(VALU_DEP_3)
	v_add_co_u32 v39, s1, v41, v31
	s_wait_alu 0xf1ff
	v_add_co_ci_u32_e64 v40, s1, v42, v32, s1
	v_add_co_u32 v41, s1, v41, v29
	s_wait_alu 0xf1ff
	v_add_co_ci_u32_e64 v42, s1, v42, v30, s1
	s_clause 0x8
	global_load_b32 v29, v[7:8], off
	global_load_b32 v30, v[11:12], off
	;; [unrolled: 1-line block ×9, first 2 shown]
	s_wait_loadcnt 0x10
	v_lshrrev_b32_e32 v21, 16, v28
	s_wait_loadcnt 0xf
	v_lshrrev_b32_e32 v27, 16, v19
	;; [unrolled: 2-line block ×17, first 2 shown]
.LBB0_11:
	s_wait_alu 0xfffe
	s_or_b32 exec_lo, exec_lo, s2
	s_delay_alu instid0(VALU_DEP_1)
	v_sub_f16_e32 v44, v27, v5
	v_add_f16_e32 v38, v19, v37
	v_sub_f16_e32 v41, v26, v7
	v_add_f16_e32 v39, v20, v36
	v_sub_f16_e32 v42, v25, v8
	v_mul_f16_e32 v60, 0xb5c8, v44
	v_add_f16_e32 v40, v16, v35
	v_mul_f16_e32 v61, 0xb964, v41
	v_sub_f16_e32 v45, v24, v9
	v_mul_f16_e32 v59, 0xbb29, v42
	v_fma_f16 v1, v38, 0x3b76, -v60
	v_add_f16_e32 v43, v17, v34
	v_fma_f16 v46, v39, 0x39e9, -v61
	v_sub_f16_e32 v47, v23, v10
	v_mul_f16_e32 v58, 0xbbf7, v45
	v_add_f16_e32 v1, v28, v1
	v_fma_f16 v48, v40, 0x3722, -v59
	v_sub_f16_e32 v49, v22, v11
	v_mul_f16_e32 v57, 0xbbb2, v47
	v_fma_f16 v50, v43, 0x2de8, -v58
	v_add_f16_e32 v1, v46, v1
	v_add_f16_e32 v46, v14, v33
	v_sub_f16_e32 v52, v18, v12
	v_mul_f16_e32 v56, 0xba62, v49
	v_add_f16_e32 v51, v4, v31
	v_add_f16_e32 v1, v48, v1
	;; [unrolled: 1-line block ×3, first 2 shown]
	v_fma_f16 v53, v46, 0xb461, -v57
	v_mul_f16_e32 v55, 0xb836, v52
	s_delay_alu instid0(VALU_DEP_4) | instskip(NEXT) | instid1(VALU_DEP_4)
	v_add_f16_e32 v1, v50, v1
	v_fma_f16 v54, v48, 0xb8d2, -v56
	v_sub_f16_e32 v50, v15, v13
	s_delay_alu instid0(VALU_DEP_4) | instskip(NEXT) | instid1(VALU_DEP_4)
	v_fma_f16 v62, v51, 0xbacd, -v55
	v_add_f16_e32 v1, v53, v1
	v_add_f16_e32 v53, v29, v30
	s_delay_alu instid0(VALU_DEP_2) | instskip(SKIP_1) | instid1(VALU_DEP_2)
	v_add_f16_e32 v1, v54, v1
	v_mul_f16_e32 v54, 0xb1e1, v50
	v_add_f16_e32 v1, v62, v1
	s_delay_alu instid0(VALU_DEP_2) | instskip(NEXT) | instid1(VALU_DEP_1)
	v_fma_f16 v62, v53, 0xbbdd, -v54
	v_add_f16_e32 v1, v62, v1
	s_and_saveexec_b32 s1, s0
	s_cbranch_execz .LBB0_13
; %bb.12:
	v_mul_f16_e32 v63, 0x3b76, v38
	v_mul_f16_e32 v64, 0x39e9, v39
	;; [unrolled: 1-line block ×5, first 2 shown]
	v_add_f16_e32 v60, v60, v63
	v_add_f16_e32 v61, v61, v64
	v_pk_mul_f16 v89, 0x372239e9, v38 op_sel_hi:[1,0]
	v_add_f16_e32 v59, v59, v65
	v_mul_f16_e32 v66, 0x3b76, v39
	v_add_f16_e32 v60, v28, v60
	v_fmamk_f16 v67, v44, 0xb1e1, v62
	v_fmamk_f16 v92, v44, 0x3964, v89
	v_pk_mul_f16 v93, 0xb8d22de8, v39 op_sel_hi:[1,0]
	v_add_f16_e32 v58, v58, v68
	v_add_f16_e32 v60, v61, v60
	v_pk_fma_f16 v89, 0xbb29b964, v44, v89 op_sel_hi:[1,0,1]
	v_mul_f16_e32 v70, 0xbacd, v40
	v_fmamk_f16 v71, v41, 0x35c8, v66
	v_add_f16_e32 v67, v28, v67
	v_add_f16_e32 v59, v59, v60
	;; [unrolled: 1-line block ×4, first 2 shown]
	v_fmamk_f16 v97, v41, 0x3bf7, v93
	v_pk_mul_f16 v98, 0xbbddb8d2, v40 op_sel_hi:[1,0]
	v_add_f16_e32 v58, v58, v59
	v_pk_add_f16 v59, v28, v89 op_sel_hi:[0,1]
	v_pk_fma_f16 v89, 0xba62bbf7, v41, v93 op_sel_hi:[1,0,1]
	v_mul_f16_e32 v69, 0xb461, v46
	v_mul_f16_e32 v74, 0x39e9, v43
	v_fmamk_f16 v75, v42, 0xb836, v70
	v_add_f16_e32 v67, v71, v67
	v_add_f16_e32 v96, v96, v20
	;; [unrolled: 1-line block ×3, first 2 shown]
	v_fmamk_f16 v97, v42, 0x3a62, v98
	v_pk_mul_f16 v99, 0xb461bbdd, v43 op_sel_hi:[1,0]
	v_pk_add_f16 v59, v89, v59
	v_pk_fma_f16 v89, 0x31e1ba62, v42, v98 op_sel_hi:[1,0,1]
	v_mul_f16_e32 v72, 0xb8d2, v48
	v_mul_f16_e32 v77, 0xb8d2, v46
	v_fmamk_f16 v78, v45, 0x3964, v74
	v_add_f16_e32 v67, v75, v67
	v_add_f16_e32 v96, v96, v16
	;; [unrolled: 1-line block ×3, first 2 shown]
	v_fmamk_f16 v97, v45, 0x31e1, v99
	v_pk_mul_f16 v102, 0x39e9bacd, v46 op_sel_hi:[1,0]
	v_add_f16_e32 v57, v57, v69
	v_pk_add_f16 v59, v89, v59
	v_pk_fma_f16 v89, 0x3bb2b1e1, v45, v99 op_sel_hi:[1,0,1]
	v_mul_f16_e32 v73, 0xbacd, v51
	v_mul_f16_e32 v80, 0x3722, v48
	v_fmamk_f16 v81, v47, 0xba62, v77
	v_add_f16_e32 v67, v78, v67
	v_add_f16_e32 v63, v96, v17
	v_pk_mul_f16 v96, 0x3b76b461, v48 op_sel_hi:[1,0]
	v_add_f16_e32 v92, v97, v92
	v_fmamk_f16 v97, v47, 0xb836, v102
	v_add_f16_e32 v57, v57, v58
	v_pk_mul_f16 v58, 0xb4612de8, v38 op_sel_hi:[1,0]
	v_add_f16_e32 v56, v56, v72
	v_pk_add_f16 v59, v89, v59
	v_pk_fma_f16 v102, 0x39643836, v47, v102 op_sel_hi:[1,0,1]
	v_mul_f16_e32 v71, 0xbbdd, v53
	v_mul_f16_e32 v83, 0xb461, v51
	v_fmamk_f16 v84, v49, 0x3b29, v80
	v_add_f16_e32 v67, v81, v67
	v_add_f16_e32 v92, v97, v92
	v_fmamk_f16 v97, v49, 0xbbb2, v96
	v_pk_mul_f16 v65, 0x2de83722, v51 op_sel_hi:[1,0]
	v_pk_mul_f16 v99, 0xbacdbbdd, v39 op_sel_hi:[1,0]
	v_add_f16_e32 v56, v56, v57
	v_add_f16_e32 v55, v55, v73
	v_pk_add_f16 v59, v102, v59
	v_pk_fma_f16 v96, 0xb5c83bb2, v49, v96 op_sel_hi:[1,0,1]
	v_pk_fma_f16 v58, 0xbbb2bbf7, v44, v58 op_sel_hi:[1,0,1]
	v_mul_f16_e32 v76, 0xb1e1, v44
	v_mul_f16_e32 v86, 0x2de8, v53
	v_fmamk_f16 v87, v52, 0xbbb2, v83
	v_add_f16_e32 v67, v84, v67
	v_pk_mul_f16 v88, 0xbacdb8d2, v38 op_sel_hi:[1,0]
	v_pk_mul_f16 v90, 0xb836ba62, v44 op_sel_hi:[1,0]
	v_fmamk_f16 v60, v52, 0xbb29, v65
	v_pk_mul_f16 v72, 0xbacd3b76, v53 op_sel_hi:[1,0]
	v_pk_mul_f16 v89, 0x39e9b461, v40 op_sel_hi:[1,0]
	v_add_f16_e32 v55, v55, v56
	v_add_f16_e32 v54, v54, v71
	v_pk_add_f16 v59, v96, v59
	v_pk_fma_f16 v65, 0xbbf73b29, v52, v65 op_sel_hi:[1,0,1]
	v_pk_add_f16 v58, v28, v58 op_sel_hi:[0,1]
	v_pk_fma_f16 v96, 0x3836b1e1, v41, v99 op_sel_hi:[1,0,1]
	v_mul_f16_e32 v75, 0x35c8, v41
	v_fmamk_f16 v91, v50, 0x3bf7, v86
	v_add_f16_e32 v67, v87, v67
	v_pk_mul_f16 v87, 0x3722b461, v39 op_sel_hi:[1,0]
	v_pk_mul_f16 v94, 0x3b293bb2, v41 op_sel_hi:[1,0]
	v_add_f16_e32 v92, v97, v92
	v_fmamk_f16 v57, v50, 0xb5c8, v72
	v_pk_mul_f16 v73, 0x37223b76, v43 op_sel_hi:[1,0]
	v_add_f16_e32 v99, v54, v55
	v_pk_add_f16 v54, v65, v59
	v_pk_fma_f16 v55, 0xb83635c8, v50, v72 op_sel_hi:[1,0,1]
	v_pk_add_f16 v58, v96, v58
	v_pk_fma_f16 v59, 0x39643bb2, v42, v89 op_sel_hi:[1,0,1]
	v_bfi_b32 v62, 0xffff, v62, v88
	v_bfi_b32 v72, 0xffff, v76, v90
	v_mul_f16_e32 v79, 0xb836, v42
	v_pk_mul_f16 v95, 0x2de83b76, v40 op_sel_hi:[1,0]
	v_add_f16_e32 v67, v91, v67
	v_pk_mul_f16 v91, 0xbbf7b5c8, v42 op_sel_hi:[1,0]
	v_add_f16_e32 v60, v60, v92
	v_pk_add_f16 v54, v55, v54
	v_pk_add_f16 v55, v59, v58
	v_pk_fma_f16 v58, 0xbb2935c8, v45, v73 op_sel_hi:[1,0,1]
	v_pk_fma_f16 v59, 0xb836ba62, v44, v88 op_sel_hi:[1,0,1]
	v_pk_add_f16 v62, v62, v72 neg_lo:[0,1] neg_hi:[0,1]
	v_bfi_b32 v66, 0xffff, v66, v87
	v_bfi_b32 v72, 0xffff, v75, v94
	v_mul_f16_e32 v78, 0x3964, v45
	v_pk_mul_f16 v100, 0xb8d2bacd, v43 op_sel_hi:[1,0]
	v_pk_mul_f16 v101, 0x3a62b836, v45 op_sel_hi:[1,0]
	v_add_f16_e32 v57, v57, v60
	v_pk_mul_f16 v60, 0xbbdd3722, v46 op_sel_hi:[1,0]
	v_pk_add_f16 v55, v58, v55
	v_pk_add_f16 v58, v28, v59 op_sel_hi:[0,1]
	v_pk_fma_f16 v59, 0x3b293bb2, v41, v87 op_sel_hi:[1,0,1]
	v_pk_add_f16 v62, v28, v62 op_sel_hi:[0,1]
	v_pk_add_f16 v66, v66, v72 neg_lo:[0,1] neg_hi:[0,1]
	v_bfi_b32 v70, 0xffff, v70, v95
	v_bfi_b32 v72, 0xffff, v79, v91
	v_mul_f16_e32 v82, 0xba62, v47
	v_pk_mul_f16 v64, 0x3b762de8, v46 op_sel_hi:[1,0]
	v_pk_mul_f16 v61, 0xb5c83bf7, v47 op_sel_hi:[1,0]
	v_pk_fma_f16 v60, 0xb1e1bb29, v47, v60 op_sel_hi:[1,0,1]
	v_pk_add_f16 v58, v59, v58
	v_pk_fma_f16 v59, 0xbbf7b5c8, v42, v95 op_sel_hi:[1,0,1]
	v_pk_add_f16 v62, v66, v62
	v_pk_add_f16 v66, v70, v72 neg_lo:[0,1] neg_hi:[0,1]
	v_bfi_b32 v70, 0xffff, v74, v100
	v_bfi_b32 v72, 0xffff, v78, v101
	v_mul_f16_e32 v81, 0x3b29, v49
	v_pk_mul_f16 v97, 0xbbdd39e9, v48 op_sel_hi:[1,0]
	v_pk_mul_f16 v68, 0xb1e1b964, v49 op_sel_hi:[1,0]
	v_pk_add_f16 v55, v60, v55
	v_pk_add_f16 v58, v59, v58
	v_pk_fma_f16 v59, 0x3a62b836, v45, v100 op_sel_hi:[1,0,1]
	v_pk_add_f16 v60, v66, v62
	v_pk_add_f16 v62, v70, v72 neg_lo:[0,1] neg_hi:[0,1]
	v_bfi_b32 v66, 0xffff, v77, v64
	v_bfi_b32 v61, 0xffff, v82, v61
	v_add_f16_e32 v63, v63, v14
	v_mul_f16_e32 v85, 0xbbb2, v52
	v_pk_mul_f16 v92, 0x39e9bbdd, v51 op_sel_hi:[1,0]
	v_pk_mul_f16 v93, 0x3964b1e1, v52 op_sel_hi:[1,0]
	v_pk_add_f16 v58, v59, v58
	v_pk_fma_f16 v59, 0xb5c83bf7, v47, v64 op_sel_hi:[1,0,1]
	v_pk_add_f16 v60, v62, v60
	v_pk_add_f16 v61, v66, v61 neg_lo:[0,1] neg_hi:[0,1]
	v_bfi_b32 v62, 0xffff, v80, v97
	v_bfi_b32 v64, 0xffff, v81, v68
	v_add_f16_e32 v63, v63, v6
	v_pk_add_f16 v58, v59, v58
	v_pk_fma_f16 v59, 0xb1e1b964, v49, v97 op_sel_hi:[1,0,1]
	v_pk_add_f16 v60, v61, v60
	v_pk_add_f16 v61, v62, v64 neg_lo:[0,1] neg_hi:[0,1]
	v_bfi_b32 v62, 0xffff, v83, v92
	v_bfi_b32 v64, 0xffff, v85, v93
	v_add_f16_e32 v63, v63, v4
	v_pk_add_f16 v58, v59, v58
	v_pk_fma_f16 v59, 0x3964b1e1, v52, v92 op_sel_hi:[1,0,1]
	v_pk_add_f16 v60, v61, v60
	v_pk_add_f16 v61, v62, v64 neg_lo:[0,1] neg_hi:[0,1]
	v_pk_mul_f16 v62, 0x3bb23a62, v44 op_sel_hi:[1,0]
	v_pk_mul_f16 v44, 0x3b293bf7, v44 op_sel_hi:[1,0]
	v_add_f16_e32 v63, v63, v29
	v_pk_add_f16 v58, v59, v58
	v_pk_add_f16 v59, v61, v60
	v_pk_fma_f16 v61, 0xb461b8d2, v38, v62 op_sel_hi:[1,0,1]
	v_pk_mul_f16 v62, 0xb836bbb2, v41 op_sel_hi:[1,0]
	v_pk_fma_f16 v38, 0x37222de8, v38, v44 op_sel_hi:[1,0,1]
	v_pk_mul_f16 v41, 0x3a6231e1, v41 op_sel_hi:[1,0]
	v_add_f16_e32 v63, v63, v30
	v_pk_add_f16 v44, v28, v61 op_sel_hi:[0,1]
	v_pk_fma_f16 v61, 0xbacdb461, v39, v62 op_sel_hi:[1,0,1]
	v_pk_mul_f16 v62, 0xb96435c8, v42 op_sel_hi:[1,0]
	v_pk_add_f16 v28, v28, v38 op_sel_hi:[0,1]
	v_pk_fma_f16 v38, 0xb8d2bbdd, v39, v41 op_sel_hi:[1,0,1]
	v_pk_mul_f16 v39, 0xb1e1bbb2, v42 op_sel_hi:[1,0]
	v_add_f16_e32 v63, v63, v31
	v_pk_add_f16 v41, v61, v44
	v_pk_fma_f16 v42, 0x39e93b76, v40, v62 op_sel_hi:[1,0,1]
	v_pk_mul_f16 v44, 0x3b293836, v45 op_sel_hi:[1,0]
	v_pk_add_f16 v28, v38, v28
	v_pk_fma_f16 v38, 0xbbddb461, v40, v39 op_sel_hi:[1,0,1]
	v_pk_mul_f16 v39, 0xbbb2b5c8, v45 op_sel_hi:[1,0]
	v_add_f16_e32 v63, v63, v32
	v_pk_add_f16 v40, v42, v41
	v_pk_fma_f16 v41, 0x3722bacd, v43, v44 op_sel_hi:[1,0,1]
	v_pk_mul_f16 v42, 0x31e1bbf7, v47 op_sel_hi:[1,0]
	v_pk_add_f16 v28, v38, v28
	;; [unrolled: 7-line block ×3, first 2 shown]
	v_pk_fma_f16 v38, 0x39e93722, v46, v39 op_sel_hi:[1,0,1]
	v_pk_mul_f16 v39, 0x35c83836, v49 op_sel_hi:[1,0]
	v_add_f16_e32 v63, v63, v34
	v_pk_mul_f16 v102, 0x2de8bacd, v48 op_sel_hi:[1,0]
	v_mul_f16_e32 v84, 0x3bf7, v50
	v_pk_mul_f16 v69, 0xb4613722, v53 op_sel_hi:[1,0]
	v_pk_mul_f16 v98, 0xbbb23b29, v50 op_sel_hi:[1,0]
	v_pk_add_f16 v40, v41, v40
	v_pk_fma_f16 v41, 0x2de839e9, v48, v42 op_sel_hi:[1,0,1]
	v_pk_mul_f16 v42, 0x35c831e1, v52 op_sel_hi:[1,0]
	v_pk_add_f16 v28, v38, v28
	v_pk_fma_f16 v38, 0x3b76bacd, v48, v39 op_sel_hi:[1,0,1]
	v_pk_mul_f16 v39, 0x3bf7ba62, v52 op_sel_hi:[1,0]
	v_pk_mul_f16 v56, 0x3b76b8d2, v51 op_sel_hi:[1,0]
	v_add_f16_e32 v63, v63, v35
	v_pk_fma_f16 v70, 0x3bf7b836, v49, v102 op_sel_hi:[1,0,1]
	v_bfi_b32 v60, 0xffff, v86, v69
	v_bfi_b32 v64, 0xffff, v84, v98
	v_pk_add_f16 v40, v41, v40
	v_pk_fma_f16 v41, 0x3b76bbdd, v51, v42 op_sel_hi:[1,0,1]
	v_pk_mul_f16 v42, 0x3a62bb29, v50 op_sel_hi:[1,0]
	v_pk_add_f16 v28, v38, v28
	v_pk_fma_f16 v38, 0x2de8b8d2, v51, v39 op_sel_hi:[1,0,1]
	v_pk_mul_f16 v39, 0x3836b964, v50 op_sel_hi:[1,0]
	v_pk_mul_f16 v71, 0xb8d239e9, v53 op_sel_hi:[1,0]
	v_add_f16_e32 v63, v63, v36
	v_pk_add_f16 v55, v70, v55
	v_pk_fma_f16 v56, 0xb5c83a62, v52, v56 op_sel_hi:[1,0,1]
	v_pk_add_f16 v43, v60, v64 neg_lo:[0,1] neg_hi:[0,1]
	v_pk_add_f16 v40, v41, v40
	v_pk_fma_f16 v41, 0xb8d23722, v53, v42 op_sel_hi:[1,0,1]
	v_pk_add_f16 v28, v38, v28
	v_pk_fma_f16 v38, 0xbacd39e9, v53, v39 op_sel_hi:[1,0,1]
	v_add_f16_e32 v63, v63, v37
	v_pk_add_f16 v55, v56, v55
	v_pk_fma_f16 v56, 0xba623964, v50, v71 op_sel_hi:[1,0,1]
	v_pk_fma_f16 v39, 0xbbb23b29, v50, v69 op_sel_hi:[1,0,1]
	v_pk_add_f16 v42, v43, v59
	v_pk_add_f16 v40, v41, v40
	;; [unrolled: 1-line block ×3, first 2 shown]
	v_mad_u32_u24 v65, v0, 34, 0
	v_pk_add_f16 v55, v56, v55
	v_pk_add_f16 v56, v39, v58
	v_pack_b32_f16 v53, v63, v99
	v_alignbit_b32 v39, v40, v42, 16
	v_pack_b32_f16 v38, v67, v42
	v_alignbit_b32 v41, v57, v28, 16
	v_alignbit_b32 v40, v28, v40, 16
	ds_store_b128 v65, v[53:56]
	ds_store_b128 v65, v[38:41] offset:16
	ds_store_b16 v65, v1 offset:32
.LBB0_13:
	s_wait_alu 0xfffe
	s_or_b32 exec_lo, exec_lo, s1
	v_sub_f16_e32 v47, v19, v37
	v_add_f16_e32 v48, v27, v5
	v_sub_f16_e32 v46, v20, v36
	v_add_f16_e32 v45, v26, v7
	v_sub_f16_e32 v52, v16, v35
	v_pk_mul_f16 v41, 0xb964b5c8, v47 op_sel_hi:[1,0]
	v_sub_f16_e32 v49, v17, v34
	v_pk_mul_f16 v16, 0xbbf7b964, v46 op_sel_hi:[1,0]
	v_add_f16_e32 v44, v25, v8
	v_sub_f16_e32 v55, v14, v33
	v_pk_fma_f16 v17, 0x39e93b76, v48, v41 op_sel_hi:[1,0,1]
	v_pk_mul_f16 v14, 0xba62bb29, v52 op_sel_hi:[1,0]
	v_pk_fma_f16 v19, 0x2de839e9, v45, v16 op_sel_hi:[1,0,1]
	v_add_f16_e32 v50, v24, v9
	v_sub_f16_e32 v57, v6, v32
	v_pk_add_f16 v17, v21, v17 op_sel_hi:[0,1]
	v_pk_mul_f16 v42, 0xb1e1bbf7, v49 op_sel_hi:[1,0]
	v_pk_fma_f16 v6, 0xb8d23722, v44, v14 op_sel_hi:[1,0,1]
	v_add_f16_e32 v54, v23, v10
	v_sub_f16_e32 v59, v4, v31
	v_pk_add_f16 v17, v19, v17
	v_pk_mul_f16 v43, 0x3836bbb2, v55 op_sel_hi:[1,0]
	v_pk_fma_f16 v4, 0xbbdd2de8, v50, v42 op_sel_hi:[1,0,1]
	v_sub_f16_e32 v60, v29, v30
	global_wb scope:SCOPE_SE
	s_wait_dscnt 0x0
	v_pk_add_f16 v6, v6, v17
	v_pk_fma_f16 v17, 0xbacdb461, v54, v43 op_sel_hi:[1,0,1]
	s_barrier_signal -1
	s_barrier_wait -1
	global_inv scope:SCOPE_SE
	v_pk_add_f16 v4, v4, v6
	v_lshl_add_u32 v6, v0, 1, 0
	v_add_f16_e32 v56, v22, v11
	v_pk_mul_f16 v51, 0x3bb2ba62, v57 op_sel_hi:[1,0]
	v_add_f16_e32 v58, v18, v12
	v_pk_add_f16 v4, v17, v4
	ds_load_u16 v39, v6
	ds_load_u16 v33, v6 offset:102
	ds_load_u16 v34, v6 offset:204
	ds_load_u16 v35, v6 offset:306
	ds_load_u16 v36, v6 offset:408
	ds_load_u16 v37, v6 offset:510
	ds_load_u16 v38, v6 offset:612
	ds_load_u16 v40, v6 offset:714
	ds_load_u16 v32, v6 offset:816
	ds_load_u16 v31, v6 offset:918
	ds_load_u16 v30, v6 offset:1020
	ds_load_u16 v29, v6 offset:1122
	ds_load_u16 v28, v6 offset:1224
	ds_load_u16 v20, v6 offset:1326
	ds_load_u16 v19, v6 offset:1428
	ds_load_u16 v17, v6 offset:1530
	v_pk_mul_f16 v53, 0x3b29b836, v59 op_sel_hi:[1,0]
	v_pk_fma_f16 v61, 0xb461b8d2, v56, v51 op_sel_hi:[1,0,1]
	v_add_f16_e32 v62, v15, v13
	global_wb scope:SCOPE_SE
	s_wait_dscnt 0x0
	s_barrier_signal -1
	v_pk_fma_f16 v63, 0x3722bacd, v58, v53 op_sel_hi:[1,0,1]
	v_pk_add_f16 v4, v61, v4
	v_pk_mul_f16 v61, 0x35c8b1e1, v60 op_sel_hi:[1,0]
	s_barrier_wait -1
	global_inv scope:SCOPE_SE
	v_pk_add_f16 v4, v63, v4
	v_pk_fma_f16 v63, 0x3b76bbdd, v62, v61 op_sel_hi:[1,0,1]
	s_delay_alu instid0(VALU_DEP_1)
	v_pk_add_f16 v4, v63, v4
	s_and_saveexec_b32 s1, s0
	s_cbranch_execz .LBB0_15
; %bb.14:
	v_add_f16_e32 v27, v21, v27
	v_pack_b32_f16 v63, v48, v48
	v_pk_mul_f16 v48, 0x39e93b76, v48 op_sel_hi:[1,0]
	v_perm_b32 v21, v21, v21, 0x5040100
	v_pack_b32_f16 v47, v47, v47
	v_add_f16_e32 v26, v27, v26
	v_pack_b32_f16 v27, v45, v45
	v_pk_mul_f16 v45, 0x2de839e9, v45 op_sel_hi:[1,0]
	v_pk_add_f16 v41, v48, v41 neg_lo:[0,1] neg_hi:[0,1]
	v_pack_b32_f16 v46, v46, v46
	v_add_f16_e32 v25, v26, v25
	v_pk_mul_f16 v26, 0xb8d23722, v44 op_sel_hi:[1,0]
	v_pk_add_f16 v16, v45, v16 neg_lo:[0,1] neg_hi:[0,1]
	v_pk_add_f16 v41, v21, v41
	v_pack_b32_f16 v64, v44, v44
	v_add_f16_e32 v24, v25, v24
	v_pack_b32_f16 v25, v49, v49
	v_pack_b32_f16 v49, v54, v54
	v_pk_mul_f16 v54, 0xbacdb461, v54 op_sel_hi:[1,0]
	v_pack_b32_f16 v44, v52, v52
	v_add_f16_e32 v23, v24, v23
	v_pack_b32_f16 v52, v50, v50
	v_pk_mul_f16 v50, 0xbbdd2de8, v50 op_sel_hi:[1,0]
	v_pk_add_f16 v14, v26, v14 neg_lo:[0,1] neg_hi:[0,1]
	v_pk_add_f16 v26, v54, v43 neg_lo:[0,1] neg_hi:[0,1]
	v_add_f16_e32 v22, v23, v22
	v_pk_mul_f16 v43, 0xbbf7bb29, v47
	v_pk_add_f16 v16, v16, v41
	v_pack_b32_f16 v24, v56, v56
	v_pk_mul_f16 v56, 0xb461b8d2, v56 op_sel_hi:[1,0]
	v_add_f16_e32 v18, v22, v18
	v_pk_fma_f16 v45, 0x2de83722, v63, v43 neg_lo:[0,0,1] neg_hi:[0,0,1]
	v_pk_add_f16 v14, v14, v16
	v_pk_mul_f16 v41, 0x3bb231e1, v44
	v_pack_b32_f16 v55, v55, v55
	v_add_f16_e32 v15, v18, v15
	v_pk_add_f16 v18, v50, v42 neg_lo:[0,1] neg_hi:[0,1]
	v_pk_add_f16 v45, v21, v45
	v_pk_mul_f16 v23, 0x3722bacd, v58 op_sel_hi:[1,0]
	v_pk_add_f16 v42, v56, v51 neg_lo:[0,1] neg_hi:[0,1]
	v_add_f16_e32 v13, v15, v13
	v_pk_add_f16 v14, v18, v14
	v_pk_fma_f16 v18, 0xb461bbdd, v64, v41 neg_lo:[0,0,1] neg_hi:[0,0,1]
	v_pack_b32_f16 v57, v57, v57
	v_pk_add_f16 v15, v23, v53 neg_lo:[0,1] neg_hi:[0,1]
	v_add_f16_e32 v12, v13, v12
	v_pk_mul_f16 v13, 0xb1e1ba62, v46
	v_pk_add_f16 v14, v26, v14
	v_pack_b32_f16 v65, v58, v58
	v_pack_b32_f16 v58, v59, v59
	v_add_f16_e32 v11, v12, v11
	v_pk_fma_f16 v16, 0xbbddb8d2, v27, v13 neg_lo:[0,0,1] neg_hi:[0,0,1]
	v_pk_mul_f16 v12, 0x35c83bb2, v25
	v_pk_add_f16 v14, v42, v14
	v_pack_b32_f16 v59, v62, v62
	v_add_f16_e32 v10, v11, v10
	v_pk_add_f16 v16, v16, v45
	v_pk_mul_f16 v11, 0xbb293964, v55
	v_pk_fma_f16 v26, 0x3b76b461, v52, v12 neg_lo:[0,0,1] neg_hi:[0,0,1]
	v_pk_mul_f16 v62, 0x3b76bbdd, v62 op_sel_hi:[1,0]
	v_add_f16_e32 v9, v10, v9
	v_pk_add_f16 v16, v18, v16
	v_pk_mul_f16 v10, 0xb836b5c8, v57
	v_pk_fma_f16 v18, 0x372239e9, v49, v11 neg_lo:[0,0,1] neg_hi:[0,0,1]
	v_pk_add_f16 v14, v15, v14
	v_add_f16_e32 v8, v9, v8
	v_pk_add_f16 v16, v26, v16
	v_pk_fma_f16 v15, 0x2de83722, v63, v43
	v_pk_add_f16 v23, v62, v61 neg_lo:[0,1] neg_hi:[0,1]
	v_pk_mul_f16 v9, 0xba62bbb2, v47
	v_add_f16_e32 v8, v8, v7
	v_pk_fma_f16 v26, 0xbacd3b76, v24, v10 neg_lo:[0,0,1] neg_hi:[0,0,1]
	v_pk_add_f16 v16, v18, v16
	v_pk_fma_f16 v13, 0xbbddb8d2, v27, v13
	v_pk_add_f16 v7, v23, v14
	v_add_f16_e32 v5, v8, v5
	v_pk_add_f16 v8, v21, v15
	v_pk_add_f16 v14, v26, v16
	v_pk_mul_f16 v15, 0x3a62bbf7, v58
	v_pk_fma_f16 v16, 0xb8d2b461, v63, v9 neg_lo:[0,0,1] neg_hi:[0,0,1]
	v_pk_mul_f16 v18, 0x3bb23836, v46
	v_pk_add_f16 v8, v13, v8
	v_pk_fma_f16 v13, 0xb461bbdd, v64, v41
	v_pk_fma_f16 v23, 0xb8d22de8, v65, v15 neg_lo:[0,0,1] neg_hi:[0,0,1]
	v_pk_add_f16 v16, v21, v16
	v_pk_fma_f16 v26, 0xb461bacd, v27, v18 neg_lo:[0,0,1] neg_hi:[0,0,1]
	v_pk_mul_f16 v41, 0xb5c83964, v44
	v_pk_add_f16 v8, v13, v8
	v_pk_fma_f16 v12, 0x3b76b461, v52, v12
	v_pk_add_f16 v13, v23, v14
	v_pk_add_f16 v14, v26, v16
	v_pk_fma_f16 v16, 0x3b7639e9, v64, v41 neg_lo:[0,0,1] neg_hi:[0,0,1]
	v_pk_mul_f16 v23, 0xb836bb29, v25
	v_pk_add_f16 v8, v12, v8
	v_pk_fma_f16 v11, 0x372239e9, v49, v11
	v_pack_b32_f16 v22, v60, v60
	v_pk_add_f16 v14, v16, v14
	v_pk_fma_f16 v16, 0xbacd3722, v52, v23 neg_lo:[0,0,1] neg_hi:[0,0,1]
	v_pk_mul_f16 v26, 0x3bf7b1e1, v55
	v_pk_add_f16 v8, v11, v8
	v_pk_fma_f16 v10, 0xbacd3b76, v24, v10
	v_pk_mul_f16 v12, 0x3964b836, v22
	v_pk_add_f16 v14, v16, v14
	v_pk_fma_f16 v16, 0x2de8bbdd, v49, v26 neg_lo:[0,0,1] neg_hi:[0,0,1]
	v_pk_mul_f16 v42, 0xb9643bf7, v57
	v_pk_add_f16 v10, v10, v8
	v_pk_fma_f16 v8, 0xb8d2b461, v63, v9
	v_pk_fma_f16 v11, 0x39e9bacd, v59, v12 neg_lo:[0,0,1] neg_hi:[0,0,1]
	v_pk_fma_f16 v9, 0xb8d22de8, v65, v15
	v_pk_add_f16 v14, v16, v14
	v_pk_fma_f16 v15, 0x39e92de8, v24, v42 neg_lo:[0,0,1] neg_hi:[0,0,1]
	v_pk_add_f16 v43, v21, v8
	v_pk_fma_f16 v18, 0xb461bacd, v27, v18
	v_pk_add_f16 v8, v11, v13
	v_pk_add_f16 v9, v9, v10
	v_pk_add_f16 v10, v15, v14
	v_pk_fma_f16 v14, 0x3b7639e9, v64, v41
	v_pk_add_f16 v13, v18, v43
	v_pk_mul_f16 v15, 0xb1e1b836, v47
	v_pk_mul_f16 v43, 0xb836bbf7, v44
	;; [unrolled: 1-line block ×4, first 2 shown]
	v_pk_add_f16 v13, v14, v13
	v_pk_fma_f16 v14, 0xbacd3722, v52, v23
	v_pk_fma_f16 v18, 0xbbddbacd, v63, v15
	v_pk_mul_f16 v23, 0x35c83b29, v46
	v_pk_fma_f16 v15, 0xbbddbacd, v63, v15 neg_lo:[0,0,1] neg_hi:[0,0,1]
	v_pk_fma_f16 v11, 0xbbdd3b76, v65, v16 neg_lo:[0,0,1] neg_hi:[0,0,1]
	v_pk_add_f16 v13, v14, v13
	v_pk_add_f16 v14, v21, v18
	v_pk_fma_f16 v18, 0x3b763722, v27, v23
	v_pk_add_f16 v15, v21, v15
	v_pk_fma_f16 v21, 0x3b763722, v27, v23 neg_lo:[0,0,1] neg_hi:[0,0,1]
	v_pk_fma_f16 v23, 0x2de8bbdd, v49, v26
	v_pk_mul_f16 v26, 0x3b29b1e1, v57
	v_pk_add_f16 v14, v18, v14
	v_pk_fma_f16 v18, 0xbacd2de8, v64, v43
	v_pk_add_f16 v15, v21, v15
	v_pk_fma_f16 v21, 0xbacd2de8, v64, v43 neg_lo:[0,0,1] neg_hi:[0,0,1]
	v_pk_add_f16 v13, v23, v13
	v_pk_mul_f16 v23, 0xba62b5c8, v55
	v_pk_add_f16 v14, v18, v14
	v_pk_fma_f16 v18, 0x39e9b8d2, v52, v25
	v_pk_add_f16 v15, v21, v15
	v_pk_fma_f16 v21, 0x39e9b8d2, v52, v25 neg_lo:[0,0,1] neg_hi:[0,0,1]
	v_pk_fma_f16 v25, 0x39e92de8, v24, v42
	v_pk_add_f16 v10, v11, v10
	v_pk_add_f16 v14, v18, v14
	v_pk_fma_f16 v18, 0xb8d23b76, v49, v23
	v_pk_add_f16 v15, v21, v15
	v_pk_fma_f16 v21, 0xb8d23b76, v49, v23 neg_lo:[0,0,1] neg_hi:[0,0,1]
	v_pk_mul_f16 v23, 0xbbb23964, v58
	v_pk_mul_f16 v11, 0x3b29ba62, v22
	v_pk_add_f16 v14, v18, v14
	v_pk_fma_f16 v18, 0x3722bbdd, v24, v26
	v_pk_add_f16 v15, v21, v15
	v_pk_fma_f16 v21, 0x3722bbdd, v24, v26 neg_lo:[0,0,1] neg_hi:[0,0,1]
	v_pk_add_f16 v13, v25, v13
	v_pk_fma_f16 v16, 0xbbdd3b76, v65, v16
	v_pk_add_f16 v14, v18, v14
	v_pk_fma_f16 v18, 0xb46139e9, v65, v23
	v_pk_mul_f16 v22, 0x3bf7bbb2, v22
	v_pk_add_f16 v15, v21, v15
	v_pk_fma_f16 v21, 0xb46139e9, v65, v23 neg_lo:[0,0,1] neg_hi:[0,0,1]
	v_pk_fma_f16 v12, 0x39e9bacd, v59, v12
	v_pk_fma_f16 v41, 0x3722b8d2, v59, v11 neg_lo:[0,0,1] neg_hi:[0,0,1]
	v_pk_add_f16 v13, v16, v13
	v_pk_add_f16 v14, v18, v14
	v_pk_fma_f16 v16, 0x2de8b461, v59, v22
	v_pk_fma_f16 v11, 0x3722b8d2, v59, v11
	v_pk_add_f16 v15, v21, v15
	v_pk_fma_f16 v18, 0x2de8b461, v59, v22 neg_lo:[0,0,1] neg_hi:[0,0,1]
	v_pk_add_f16 v21, v12, v9
	v_pk_add_f16 v12, v16, v14
	;; [unrolled: 1-line block ×5, first 2 shown]
	v_lshl_add_u32 v15, v0, 5, v6
	v_alignbit_b32 v11, v12, v12, 16
	v_alignbit_b32 v12, v13, v13, 16
	;; [unrolled: 1-line block ×4, first 2 shown]
	ds_store_b16 v15, v5
	ds_store_b128 v15, v[7:10] offset:2
	ds_store_b128 v15, v[11:14] offset:18
.LBB0_15:
	s_wait_alu 0xfffe
	s_or_b32 exec_lo, exec_lo, s1
	v_add_nc_u32_e32 v9, 51, v0
	v_add_nc_u32_e32 v8, 0x66, v0
	v_and_b32_e32 v5, 0xff, v0
	v_add_nc_u32_e32 v7, 0x99, v0
	v_add_nc_u32_e32 v10, 0xcc, v0
	v_and_b32_e32 v12, 0xff, v9
	v_and_b32_e32 v13, 0xff, v8
	v_mul_lo_u16 v5, 0xf1, v5
	v_add_nc_u32_e32 v11, 0xff, v0
	v_and_b32_e32 v21, 0xff, v7
	v_mul_lo_u16 v42, 0xf1, v12
	v_mul_lo_u16 v41, 0xf1, v13
	v_lshrrev_b16 v18, 12, v5
	v_add_nc_u32_e32 v13, 0x132, v0
	v_add_nc_u32_e32 v12, 0x165, v0
	v_lshrrev_b16 v24, 12, v42
	v_lshrrev_b16 v25, 12, v41
	v_mul_lo_u16 v5, v18, 17
	v_and_b32_e32 v16, 0xff, v10
	v_mul_lo_u16 v43, 0xf1, v21
	v_mul_lo_u16 v14, v24, 17
	;; [unrolled: 1-line block ×3, first 2 shown]
	v_sub_nc_u16 v5, v0, v5
	v_mul_lo_u16 v45, 0xf1, v16
	v_lshrrev_b16 v49, 12, v43
	v_sub_nc_u16 v14, v9, v14
	v_sub_nc_u16 v15, v8, v15
	v_and_b32_e32 v26, 0xff, v5
	v_and_b32_e32 v5, 0xffff, v13
	v_lshrrev_b16 v71, 12, v45
	v_and_b32_e32 v27, 0xff, v14
	v_and_b32_e32 v14, 0xffff, v11
	;; [unrolled: 1-line block ×4, first 2 shown]
	v_mul_u32_u24_e32 v21, 0xf0f1, v5
	v_mul_lo_u16 v50, v71, 17
	v_mul_u32_u24_e32 v44, 0xf0f1, v14
	v_lshlrev_b32_e32 v22, 2, v26
	v_mul_u32_u24_e32 v48, 0xf0f1, v15
	v_lshrrev_b32_e32 v73, 20, v21
	v_mul_lo_u16 v21, v49, 17
	v_lshrrev_b32_e32 v72, 20, v44
	v_sub_nc_u16 v50, v10, v50
	v_lshrrev_b32_e32 v48, 20, v48
	v_mul_lo_u16 v52, v73, 17
	v_sub_nc_u16 v21, v7, v21
	v_mul_lo_u16 v51, v72, 17
	v_and_b32_e32 v75, 0xff, v50
	v_mul_lo_u16 v53, v48, 17
	v_sub_nc_u16 v52, v13, v52
	v_and_b32_e32 v74, 0xff, v21
	v_sub_nc_u16 v51, v11, v51
	v_lshlrev_b32_e32 v23, 2, v27
	v_sub_nc_u16 v53, v12, v53
	v_and_b32_e32 v77, 0xffff, v52
	global_wb scope:SCOPE_SE
	s_wait_dscnt 0x0
	v_and_b32_e32 v76, 0xffff, v51
	s_barrier_signal -1
	v_and_b32_e32 v78, 0xffff, v53
	s_barrier_wait -1
	global_inv scope:SCOPE_SE
	v_lshlrev_b32_e32 v47, 2, v46
	global_load_b32 v57, v22, s[4:5]
	v_lshlrev_b32_e32 v21, 2, v74
	v_lshlrev_b32_e32 v22, 2, v75
	;; [unrolled: 1-line block ×5, first 2 shown]
	s_clause 0x6
	global_load_b32 v58, v23, s[4:5]
	global_load_b32 v59, v47, s[4:5]
	;; [unrolled: 1-line block ×7, first 2 shown]
	ds_load_u16 v52, v6
	ds_load_u16 v53, v6 offset:102
	ds_load_u16 v54, v6 offset:204
	;; [unrolled: 1-line block ×7, first 2 shown]
	v_and_b32_e32 v18, 0xffff, v18
	ds_load_u16 v70, v6 offset:816
	ds_load_u16 v65, v6 offset:918
	;; [unrolled: 1-line block ×8, first 2 shown]
	v_lshlrev_b32_e32 v26, 1, v26
	v_and_b32_e32 v24, 0xffff, v24
	v_and_b32_e32 v25, 0xffff, v25
	v_mul_u32_u24_e32 v18, 0x44, v18
	v_and_b32_e32 v47, 0xffff, v49
	v_and_b32_e32 v49, 0xffff, v71
	v_mul_u32_u24_e32 v72, 0x44, v72
	v_mul_u32_u24_e32 v73, 0x44, v73
	;; [unrolled: 1-line block ×3, first 2 shown]
	v_add3_u32 v71, 0, v18, v26
	v_lshlrev_b32_e32 v18, 1, v27
	v_lshlrev_b32_e32 v27, 1, v74
	;; [unrolled: 1-line block ×5, first 2 shown]
	v_mul_u32_u24_e32 v24, 0x44, v24
	v_mul_u32_u24_e32 v25, 0x44, v25
	;; [unrolled: 1-line block ×4, first 2 shown]
	v_lshlrev_b32_e32 v26, 1, v46
	v_lshlrev_b32_e32 v46, 1, v75
	v_add3_u32 v74, 0, v72, v74
	v_add3_u32 v73, 0, v73, v79
	;; [unrolled: 1-line block ×7, first 2 shown]
	global_wb scope:SCOPE_SE
	s_wait_loadcnt_dscnt 0x0
	s_barrier_signal -1
	s_barrier_wait -1
	global_inv scope:SCOPE_SE
	v_cmp_gt_u32_e64 s0, 17, v0
	v_lshrrev_b32_e32 v82, 16, v57
	v_lshrrev_b32_e32 v86, 16, v58
	;; [unrolled: 1-line block ×8, first 2 shown]
	v_mul_f16_e32 v18, v70, v82
	v_mul_f16_e32 v24, v65, v86
	;; [unrolled: 1-line block ×8, first 2 shown]
	v_fmac_f16_e32 v18, v32, v57
	v_fmac_f16_e32 v24, v31, v58
	;; [unrolled: 1-line block ×8, first 2 shown]
	v_sub_f16_e32 v49, v39, v18
	v_sub_f16_e32 v24, v33, v24
	;; [unrolled: 1-line block ×8, first 2 shown]
	v_fma_f16 v39, v39, 2.0, -v49
	v_fma_f16 v33, v33, 2.0, -v24
	;; [unrolled: 1-line block ×8, first 2 shown]
	ds_store_b16 v71, v39
	ds_store_b16 v71, v49 offset:34
	ds_store_b16 v78, v33
	ds_store_b16 v78, v24 offset:34
	;; [unrolled: 2-line block ×8, first 2 shown]
	global_wb scope:SCOPE_SE
	s_wait_dscnt 0x0
	s_barrier_signal -1
	s_barrier_wait -1
	global_inv scope:SCOPE_SE
	ds_load_u16 v35, v6 offset:646
	ds_load_u16 v34, v6 offset:748
	ds_load_u16 v33, v6
	ds_load_u16 v27, v6 offset:102
	ds_load_u16 v25, v6 offset:204
	;; [unrolled: 1-line block ×12, first 2 shown]
                                        ; implicit-def: $vgpr49
	s_and_saveexec_b32 s1, s0
	s_cbranch_execz .LBB0_17
; %bb.16:
	ds_load_u16 v18, v6 offset:510
	ds_load_u16 v1, v6 offset:1054
	;; [unrolled: 1-line block ×3, first 2 shown]
.LBB0_17:
	s_wait_alu 0xfffe
	s_or_b32 exec_lo, exec_lo, s1
	v_mul_f16_e32 v32, v32, v82
	v_mul_f16_e32 v31, v31, v86
	;; [unrolled: 1-line block ×8, first 2 shown]
	v_fma_f16 v32, v70, v57, -v32
	v_fma_f16 v31, v65, v58, -v31
	;; [unrolled: 1-line block ×8, first 2 shown]
	v_sub_f16_e32 v32, v52, v32
	v_sub_f16_e32 v31, v53, v31
	;; [unrolled: 1-line block ×8, first 2 shown]
	v_fma_f16 v52, v52, 2.0, -v32
	v_fma_f16 v53, v53, 2.0, -v31
	v_fma_f16 v54, v54, 2.0, -v30
	v_fma_f16 v21, v21, 2.0, -v29
	v_fma_f16 v22, v22, 2.0, -v28
	v_fma_f16 v23, v23, 2.0, -v20
	v_fma_f16 v50, v50, 2.0, -v19
	v_fma_f16 v51, v51, 2.0, -v17
	global_wb scope:SCOPE_SE
	s_wait_dscnt 0x0
	s_barrier_signal -1
	s_barrier_wait -1
	global_inv scope:SCOPE_SE
	ds_store_b16 v71, v52
	ds_store_b16 v71, v32 offset:34
	ds_store_b16 v78, v53
	ds_store_b16 v78, v31 offset:34
	;; [unrolled: 2-line block ×8, first 2 shown]
	global_wb scope:SCOPE_SE
	s_wait_dscnt 0x0
	s_barrier_signal -1
	s_barrier_wait -1
	global_inv scope:SCOPE_SE
	ds_load_u16 v29, v6 offset:646
	ds_load_u16 v28, v6 offset:748
	ds_load_u16 v23, v6
	ds_load_u16 v22, v6 offset:102
	ds_load_u16 v20, v6 offset:204
	;; [unrolled: 1-line block ×12, first 2 shown]
                                        ; implicit-def: $vgpr55
	s_and_saveexec_b32 s1, s0
	s_cbranch_execz .LBB0_19
; %bb.18:
	ds_load_u16 v17, v6 offset:510
	ds_load_u16 v4, v6 offset:1054
	;; [unrolled: 1-line block ×3, first 2 shown]
.LBB0_19:
	s_wait_alu 0xfffe
	s_or_b32 exec_lo, exec_lo, s1
	v_subrev_nc_u32_e32 v56, 34, v0
	v_cmp_gt_u32_e64 s1, 34, v0
	v_lshrrev_b16 v59, 13, v41
	v_lshrrev_b16 v45, 13, v45
	v_lshrrev_b32_e32 v41, 21, v44
	v_lshrrev_b16 v58, 13, v42
	s_wait_alu 0xf1ff
	v_cndmask_b32_e64 v56, v56, v0, s1
	v_mov_b32_e32 v57, 0
	v_mul_lo_u16 v60, v45, 34
	v_mul_lo_u16 v61, v41, 34
	v_lshrrev_b16 v43, 13, v43
	v_lshlrev_b32_e32 v56, 1, v56
	v_mul_lo_u16 v44, v58, 34
	v_sub_nc_u16 v60, v10, v60
	v_sub_nc_u16 v61, v11, v61
	v_mul_lo_u16 v62, v43, 34
	v_lshlrev_b64_e32 v[41:42], 2, v[56:57]
	v_mul_lo_u16 v57, v59, 34
	v_and_b32_e32 v60, 0xff, v60
	v_sub_nc_u16 v44, v9, v44
	v_and_b32_e32 v61, 0xffff, v61
	v_sub_nc_u16 v62, v7, v62
	v_sub_nc_u16 v57, v8, v57
	v_add_co_u32 v41, s1, s4, v41
	s_wait_alu 0xf1ff
	v_add_co_ci_u32_e64 v42, s1, s5, v42, s1
	v_lshlrev_b32_e32 v63, 3, v60
	v_and_b32_e32 v44, 0xff, v44
	v_lshlrev_b32_e32 v64, 3, v61
	v_and_b32_e32 v57, 0xff, v57
	v_and_b32_e32 v62, 0xff, v62
	s_clause 0x2
	global_load_b64 v[69:70], v63, s[4:5] offset:68
	global_load_b64 v[73:74], v[41:42], off offset:68
	global_load_b64 v[71:72], v64, s[4:5] offset:68
	v_lshlrev_b32_e32 v63, 3, v44
	v_lshlrev_b32_e32 v64, 3, v57
	;; [unrolled: 1-line block ×3, first 2 shown]
	s_clause 0x2
	global_load_b64 v[75:76], v63, s[4:5] offset:68
	global_load_b64 v[77:78], v64, s[4:5] offset:68
	global_load_b64 v[79:80], v41, s[4:5] offset:68
	v_cmp_lt_u32_e64 s1, 33, v0
	v_and_b32_e32 v41, 0xffff, v58
	v_and_b32_e32 v42, 0xffff, v59
	;; [unrolled: 1-line block ×4, first 2 shown]
	s_wait_alu 0xf1ff
	v_cndmask_b32_e64 v58, 0, 0xcc, s1
	v_mul_u32_u24_e32 v59, 0xcc, v41
	v_mul_u32_u24_e32 v63, 0xcc, v42
	;; [unrolled: 1-line block ×4, first 2 shown]
	v_add3_u32 v42, 0, v58, v56
	v_lshlrev_b32_e32 v44, 1, v44
	v_lshlrev_b32_e32 v45, 1, v57
	;; [unrolled: 1-line block ×4, first 2 shown]
	v_lshl_add_u32 v41, v61, 1, 0
	v_add3_u32 v56, 0, v59, v44
	v_add3_u32 v45, 0, v63, v45
	;; [unrolled: 1-line block ×4, first 2 shown]
	global_wb scope:SCOPE_SE
	s_wait_loadcnt_dscnt 0x0
	s_barrier_signal -1
	s_barrier_wait -1
	global_inv scope:SCOPE_SE
	v_lshrrev_b32_e32 v57, 16, v69
	v_lshrrev_b32_e32 v58, 16, v70
	;; [unrolled: 1-line block ×12, first 2 shown]
	v_mul_f16_e32 v59, v54, v57
	v_mul_f16_e32 v60, v53, v58
	;; [unrolled: 1-line block ×21, first 2 shown]
	v_fmac_f16_e32 v59, v48, v69
	v_fmac_f16_e32 v60, v47, v70
	;; [unrolled: 1-line block ×4, first 2 shown]
	v_mul_f16_e32 v81, v39, v81
	v_fmac_f16_e32 v64, v35, v75
	v_fmac_f16_e32 v66, v39, v76
	v_mul_f16_e32 v83, v38, v83
	v_mul_f16_e32 v84, v36, v84
	v_fmac_f16_e32 v63, v34, v77
	v_fmac_f16_e32 v65, v38, v78
	;; [unrolled: 1-line block ×4, first 2 shown]
	v_fma_f16 v48, v54, v69, -v86
	v_fma_f16 v47, v53, v70, -v87
	v_fmac_f16_e32 v58, v49, v72
	v_fma_f16 v49, v51, v73, -v90
	v_fma_f16 v40, v52, v74, -v91
	v_fma_f16 v34, v28, v77, -v82
	v_fma_f16 v28, v31, v80, -v85
	v_add_f16_e32 v31, v59, v60
	v_add_f16_e32 v38, v67, v68
	v_fma_f16 v46, v29, v75, -v92
	v_fma_f16 v35, v50, v76, -v81
	v_add_f16_e32 v51, v64, v66
	v_fma_f16 v32, v32, v78, -v83
	v_fma_f16 v29, v30, v79, -v84
	v_add_f16_e32 v37, v33, v67
	v_add_f16_e32 v54, v63, v65
	;; [unrolled: 1-line block ×4, first 2 shown]
	v_sub_f16_e32 v36, v48, v47
	v_sub_f16_e32 v39, v49, v40
	v_fmac_f16_e32 v26, -0.5, v31
	v_fmac_f16_e32 v33, -0.5, v38
	v_add_f16_e32 v50, v27, v64
	v_sub_f16_e32 v52, v46, v35
	v_fmac_f16_e32 v27, -0.5, v51
	v_fmac_f16_e32 v57, v1, v71
	v_fma_f16 v4, v4, v71, -v88
	v_fma_f16 v1, v55, v72, -v89
	v_add_f16_e32 v53, v25, v63
	v_sub_f16_e32 v55, v34, v32
	v_add_f16_e32 v69, v24, v61
	v_sub_f16_e32 v71, v29, v28
	v_add_f16_e32 v31, v37, v68
	v_fmac_f16_e32 v25, -0.5, v54
	v_fmac_f16_e32 v24, -0.5, v70
	v_fmamk_f16 v51, v36, 0xbaee, v26
	v_fmac_f16_e32 v26, 0x3aee, v36
	v_fmamk_f16 v36, v39, 0xbaee, v33
	v_fmac_f16_e32 v33, 0x3aee, v39
	v_add_f16_e32 v37, v50, v66
	v_fmamk_f16 v39, v52, 0xbaee, v27
	v_add_f16_e32 v30, v30, v60
	v_add_f16_e32 v38, v53, v65
	;; [unrolled: 1-line block ×3, first 2 shown]
	v_fmac_f16_e32 v27, 0x3aee, v52
	v_fmamk_f16 v52, v55, 0xbaee, v25
	v_fmac_f16_e32 v25, 0x3aee, v55
	v_fmamk_f16 v53, v71, 0xbaee, v24
	v_fmac_f16_e32 v24, 0x3aee, v71
	ds_store_b16 v42, v31
	ds_store_b16 v42, v36 offset:68
	ds_store_b16 v42, v33 offset:136
	ds_store_b16 v56, v37
	ds_store_b16 v56, v39 offset:68
	ds_store_b16 v56, v27 offset:136
	;; [unrolled: 3-line block ×5, first 2 shown]
	s_and_saveexec_b32 s1, s0
	s_cbranch_execz .LBB0_21
; %bb.20:
	v_add_f16_e32 v24, v57, v58
	v_add_f16_e32 v26, v18, v57
	v_sub_f16_e32 v25, v4, v1
	s_delay_alu instid0(VALU_DEP_3) | instskip(NEXT) | instid1(VALU_DEP_3)
	v_fma_f16 v18, -0.5, v24, v18
	v_add_f16_e32 v24, v26, v58
	s_delay_alu instid0(VALU_DEP_2)
	v_fmamk_f16 v26, v25, 0x3aee, v18
	v_fmac_f16_e32 v18, 0xbaee, v25
	ds_store_b16 v41, v24 offset:1428
	ds_store_b16 v41, v18 offset:1496
	;; [unrolled: 1-line block ×3, first 2 shown]
.LBB0_21:
	s_wait_alu 0xfffe
	s_or_b32 exec_lo, exec_lo, s1
	v_add_f16_e32 v18, v49, v40
	v_add_f16_e32 v24, v23, v49
	;; [unrolled: 1-line block ×3, first 2 shown]
	v_sub_f16_e32 v25, v67, v68
	v_add_f16_e32 v27, v34, v32
	v_fmac_f16_e32 v23, -0.5, v18
	v_add_f16_e32 v18, v22, v46
	v_add_f16_e32 v39, v24, v40
	v_fmac_f16_e32 v22, -0.5, v26
	v_sub_f16_e32 v24, v64, v66
	v_fmamk_f16 v40, v25, 0x3aee, v23
	v_add_f16_e32 v46, v18, v35
	v_add_f16_e32 v18, v20, v34
	v_fmac_f16_e32 v23, 0xbaee, v25
	v_fmac_f16_e32 v20, -0.5, v27
	v_sub_f16_e32 v25, v63, v65
	v_fmamk_f16 v49, v24, 0x3aee, v22
	v_fmac_f16_e32 v22, 0xbaee, v24
	v_add_f16_e32 v50, v18, v32
	v_add_f16_e32 v18, v29, v28
	;; [unrolled: 1-line block ×3, first 2 shown]
	v_fmamk_f16 v51, v25, 0x3aee, v20
	v_fmac_f16_e32 v20, 0xbaee, v25
	v_add_f16_e32 v25, v19, v29
	v_fmac_f16_e32 v19, -0.5, v18
	v_sub_f16_e32 v18, v61, v62
	v_add_f16_e32 v26, v21, v48
	v_fmac_f16_e32 v21, -0.5, v24
	v_sub_f16_e32 v24, v59, v60
	v_add_f16_e32 v48, v25, v28
	v_fmamk_f16 v52, v18, 0x3aee, v19
	v_fmac_f16_e32 v19, 0xbaee, v18
	v_add_f16_e32 v47, v26, v47
	v_fmamk_f16 v53, v24, 0x3aee, v21
	v_fmac_f16_e32 v21, 0xbaee, v24
	global_wb scope:SCOPE_SE
	s_wait_dscnt 0x0
	s_barrier_signal -1
	s_barrier_wait -1
	global_inv scope:SCOPE_SE
	ds_load_u16 v27, v6
	ds_load_u16 v28, v6 offset:102
	ds_load_u16 v29, v6 offset:204
	;; [unrolled: 1-line block ×15, first 2 shown]
	global_wb scope:SCOPE_SE
	s_wait_dscnt 0x0
	s_barrier_signal -1
	s_barrier_wait -1
	global_inv scope:SCOPE_SE
	ds_store_b16 v42, v39
	ds_store_b16 v42, v40 offset:68
	ds_store_b16 v42, v23 offset:136
	ds_store_b16 v56, v46
	ds_store_b16 v56, v49 offset:68
	ds_store_b16 v56, v22 offset:136
	;; [unrolled: 3-line block ×5, first 2 shown]
	s_and_saveexec_b32 s1, s0
	s_cbranch_execz .LBB0_23
; %bb.22:
	v_add_f16_e32 v19, v4, v1
	v_add_f16_e32 v4, v17, v4
	v_sub_f16_e32 v20, v57, v58
	s_delay_alu instid0(VALU_DEP_3) | instskip(NEXT) | instid1(VALU_DEP_3)
	v_fmac_f16_e32 v17, -0.5, v19
	v_add_f16_e32 v1, v4, v1
	s_delay_alu instid0(VALU_DEP_2)
	v_fmamk_f16 v4, v20, 0x3aee, v17
	v_fmac_f16_e32 v17, 0xbaee, v20
	ds_store_b16 v41, v1 offset:1428
	ds_store_b16 v41, v4 offset:1496
	ds_store_b16 v41, v17 offset:1564
.LBB0_23:
	s_wait_alu 0xfffe
	s_or_b32 exec_lo, exec_lo, s1
	v_mul_u32_u24_e32 v14, 0xa0a1, v14
	v_mul_lo_u16 v4, 0xa1, v16
	v_mul_u32_u24_e32 v19, 0xa0a1, v5
	v_mul_u32_u24_e32 v15, 0xa0a1, v15
	global_wb scope:SCOPE_SE
	s_wait_dscnt 0x0
	v_lshrrev_b32_e32 v14, 22, v14
	s_barrier_signal -1
	s_barrier_wait -1
	v_lshrrev_b32_e32 v15, 22, v15
	global_inv scope:SCOPE_SE
	v_mul_lo_u16 v14, 0x66, v14
	v_mul_lo_u16 v15, 0x66, v15
	s_delay_alu instid0(VALU_DEP_2) | instskip(SKIP_1) | instid1(VALU_DEP_3)
	v_sub_nc_u16 v14, v11, v14
	v_mov_b32_e32 v1, 0
	v_sub_nc_u16 v15, v12, v15
	s_delay_alu instid0(VALU_DEP_3) | instskip(NEXT) | instid1(VALU_DEP_3)
	v_and_b32_e32 v14, 0xffff, v14
	v_lshlrev_b64_e32 v[16:17], 2, v[0:1]
	v_lshrrev_b16 v1, 14, v4
	s_delay_alu instid0(VALU_DEP_4) | instskip(NEXT) | instid1(VALU_DEP_4)
	v_and_b32_e32 v15, 0xffff, v15
	v_lshlrev_b32_e32 v21, 2, v14
	v_lshl_add_u32 v14, v14, 1, 0
	v_add_co_u32 v4, s0, s4, v16
	v_lshrrev_b32_e32 v16, 22, v19
	v_mul_lo_u16 v1, 0x66, v1
	s_wait_alu 0xf1ff
	v_add_co_ci_u32_e64 v5, s0, s5, v17, s0
	v_lshlrev_b32_e32 v23, 2, v15
	v_mul_lo_u16 v16, 0x66, v16
	v_sub_nc_u16 v1, v10, v1
	s_clause 0x1
	global_load_b32 v17, v[4:5], off offset:340
	global_load_b32 v19, v[4:5], off offset:544
	v_lshl_add_u32 v15, v15, 1, 0
	v_sub_nc_u16 v16, v13, v16
	v_and_b32_e32 v1, 0xff, v1
	s_delay_alu instid0(VALU_DEP_2) | instskip(NEXT) | instid1(VALU_DEP_2)
	v_and_b32_e32 v16, 0xffff, v16
	v_lshlrev_b32_e32 v20, 2, v1
	v_lshl_add_u32 v1, v1, 1, 0
	s_delay_alu instid0(VALU_DEP_3)
	v_lshlrev_b32_e32 v22, 2, v16
	s_clause 0x3
	global_load_b32 v20, v20, s[4:5] offset:340
	global_load_b32 v21, v21, s[4:5] offset:340
	;; [unrolled: 1-line block ×4, first 2 shown]
	ds_load_u16 v39, v6 offset:816
	ds_load_u16 v40, v6 offset:918
	ds_load_u16 v41, v6
	ds_load_u16 v42, v6 offset:102
	ds_load_u16 v43, v6 offset:204
	;; [unrolled: 1-line block ×13, first 2 shown]
	global_wb scope:SCOPE_SE
	s_wait_loadcnt_dscnt 0x0
	s_barrier_signal -1
	s_barrier_wait -1
	global_inv scope:SCOPE_SE
	v_lshl_add_u32 v16, v16, 1, 0
	v_lshrrev_b32_e32 v55, 16, v17
	v_lshrrev_b32_e32 v56, 16, v19
	s_delay_alu instid0(VALU_DEP_2) | instskip(NEXT) | instid1(VALU_DEP_2)
	v_mul_f16_e32 v57, v39, v55
	v_mul_f16_e32 v62, v50, v56
	;; [unrolled: 1-line block ×8, first 2 shown]
	v_fmac_f16_e32 v57, v38, v17
	v_fmac_f16_e32 v62, v35, v19
	v_lshrrev_b32_e32 v35, 16, v20
	v_fmac_f16_e32 v59, v37, v19
	v_fmac_f16_e32 v61, v36, v17
	v_lshrrev_b32_e32 v36, 16, v21
	v_fma_f16 v38, v39, v17, -v58
	v_fma_f16 v37, v40, v19, -v60
	v_lshrrev_b32_e32 v39, 16, v22
	v_lshrrev_b32_e32 v40, 16, v23
	v_fma_f16 v17, v49, v17, -v55
	v_sub_f16_e32 v49, v27, v57
	v_mul_f16_e32 v57, v51, v35
	v_fma_f16 v19, v50, v19, -v56
	v_sub_f16_e32 v50, v28, v59
	v_mul_f16_e32 v58, v52, v36
	v_sub_f16_e32 v55, v29, v61
	v_mul_f16_e32 v59, v53, v39
	v_mul_f16_e32 v60, v54, v40
	v_sub_f16_e32 v56, v30, v62
	v_mul_f16_e32 v35, v34, v35
	v_mul_f16_e32 v36, v33, v36
	;; [unrolled: 1-line block ×4, first 2 shown]
	v_fma_f16 v27, v27, 2.0, -v49
	v_fmac_f16_e32 v57, v34, v20
	v_fma_f16 v28, v28, 2.0, -v50
	v_fmac_f16_e32 v58, v33, v21
	;; [unrolled: 2-line block ×3, first 2 shown]
	v_fmac_f16_e32 v60, v31, v23
	v_sub_f16_e32 v38, v41, v38
	v_fma_f16 v30, v30, 2.0, -v56
	v_fma_f16 v20, v51, v20, -v35
	v_fma_f16 v21, v52, v21, -v36
	;; [unrolled: 1-line block ×4, first 2 shown]
	ds_store_b16 v6, v27
	ds_store_b16 v6, v28 offset:102
	ds_store_b16 v6, v49 offset:204
	ds_store_b16 v6, v50 offset:306
	ds_store_b16 v6, v29 offset:408
	ds_store_b16 v6, v30 offset:510
	ds_store_b16 v6, v55 offset:612
	ds_store_b16 v6, v56 offset:714
	v_sub_f16_e32 v27, v18, v57
	v_sub_f16_e32 v37, v42, v37
	;; [unrolled: 1-line block ×7, first 2 shown]
	v_fma_f16 v41, v41, 2.0, -v38
	v_sub_f16_e32 v20, v45, v20
	v_sub_f16_e32 v21, v46, v21
	;; [unrolled: 1-line block ×4, first 2 shown]
	v_fma_f16 v18, v18, 2.0, -v27
	v_fma_f16 v42, v42, 2.0, -v37
	;; [unrolled: 1-line block ×11, first 2 shown]
	ds_store_b16 v1, v18 offset:816
	ds_store_b16 v1, v27 offset:1020
	;; [unrolled: 1-line block ×8, first 2 shown]
	global_wb scope:SCOPE_SE
	s_wait_dscnt 0x0
	s_barrier_signal -1
	s_barrier_wait -1
	global_inv scope:SCOPE_SE
	ds_load_u16 v18, v6
	ds_load_u16 v24, v6 offset:102
	ds_load_u16 v25, v6 offset:204
	;; [unrolled: 1-line block ×15, first 2 shown]
	global_wb scope:SCOPE_SE
	s_wait_dscnt 0x0
	s_barrier_signal -1
	s_barrier_wait -1
	global_inv scope:SCOPE_SE
	ds_store_b16 v6, v41
	ds_store_b16 v6, v42 offset:102
	ds_store_b16 v6, v38 offset:204
	;; [unrolled: 1-line block ×15, first 2 shown]
	global_wb scope:SCOPE_SE
	s_wait_dscnt 0x0
	s_barrier_signal -1
	s_barrier_wait -1
	global_inv scope:SCOPE_SE
	s_clause 0x3
	global_load_b32 v1, v[4:5], off offset:748
	global_load_b32 v14, v[4:5], off offset:952
	;; [unrolled: 1-line block ×4, first 2 shown]
	ds_load_u16 v17, v6 offset:816
	ds_load_u16 v19, v6 offset:918
	;; [unrolled: 1-line block ×4, first 2 shown]
	ds_load_u16 v22, v6
	ds_load_u16 v23, v6 offset:102
	ds_load_u16 v31, v6 offset:204
	;; [unrolled: 1-line block ×11, first 2 shown]
	global_wb scope:SCOPE_SE
	s_wait_loadcnt_dscnt 0x0
	s_barrier_signal -1
	s_barrier_wait -1
	global_inv scope:SCOPE_SE
	v_lshrrev_b32_e32 v49, 16, v1
	v_lshrrev_b32_e32 v50, 16, v14
	;; [unrolled: 1-line block ×4, first 2 shown]
	s_delay_alu instid0(VALU_DEP_4)
	v_mul_f16_e32 v53, v17, v49
	v_mul_f16_e32 v54, v35, v49
	;; [unrolled: 1-line block ×16, first 2 shown]
	v_fmac_f16_e32 v53, v35, v1
	v_fma_f16 v17, v17, v1, -v54
	v_fmac_f16_e32 v55, v36, v14
	v_fma_f16 v19, v19, v14, -v56
	;; [unrolled: 2-line block ×8, first 2 shown]
	v_sub_f16_e32 v35, v18, v53
	v_sub_f16_e32 v36, v22, v17
	;; [unrolled: 1-line block ×16, first 2 shown]
	v_fma_f16 v16, v18, 2.0, -v35
	v_fma_f16 v18, v24, 2.0, -v17
	;; [unrolled: 1-line block ×10, first 2 shown]
	ds_store_b16 v6, v16
	ds_store_b16 v6, v18 offset:102
	ds_store_b16 v6, v22 offset:204
	;; [unrolled: 1-line block ×15, first 2 shown]
	global_wb scope:SCOPE_SE
	s_wait_dscnt 0x0
	s_barrier_signal -1
	s_barrier_wait -1
	global_inv scope:SCOPE_SE
	ds_load_u16 v1, v6
	ds_load_u16 v14, v6 offset:102
	ds_load_u16 v15, v6 offset:204
	;; [unrolled: 1-line block ×15, first 2 shown]
	v_fma_f16 v31, v31, 2.0, -v40
	v_fma_f16 v32, v32, 2.0, -v41
	;; [unrolled: 1-line block ×6, first 2 shown]
	global_wb scope:SCOPE_SE
	s_wait_dscnt 0x0
	s_barrier_signal -1
	s_barrier_wait -1
	global_inv scope:SCOPE_SE
	ds_store_b16 v6, v46
	ds_store_b16 v6, v47 offset:102
	ds_store_b16 v6, v31 offset:204
	;; [unrolled: 1-line block ×15, first 2 shown]
	global_wb scope:SCOPE_SE
	s_wait_dscnt 0x0
	s_barrier_signal -1
	s_barrier_wait -1
	global_inv scope:SCOPE_SE
	s_and_saveexec_b32 s0, vcc_lo
	s_cbranch_execz .LBB0_25
; %bb.24:
	s_clause 0x7
	global_load_b32 v59, v[4:5], off offset:2992
	global_load_b32 v60, v[4:5], off offset:2788
	;; [unrolled: 1-line block ×8, first 2 shown]
	v_mad_co_u64_u32 v[29:30], null, s8, v8, 0
	v_add_nc_u32_e32 v49, 0x1cb, v0
	v_add_co_u32 v83, vcc_lo, s10, v2
	v_mad_co_u64_u32 v[4:5], null, s8, v0, 0
	v_mul_hi_u32 v45, 0xa0a0a0a1, v10
	v_mul_hi_u32 v46, 0xa0a0a0a1, v11
	ds_load_u16 v67, v6 offset:1530
	ds_load_u16 v68, v6 offset:1428
	;; [unrolled: 1-line block ×15, first 2 shown]
	ds_load_u16 v82, v6
	v_mov_b32_e32 v6, v30
	s_wait_alu 0xfffd
	v_add_co_ci_u32_e32 v84, vcc_lo, s11, v3, vcc_lo
	v_mad_co_u64_u32 v[2:3], null, s8, v9, 0
	v_mad_co_u64_u32 v[31:32], null, s8, v7, 0
	;; [unrolled: 1-line block ×3, first 2 shown]
	v_mul_hi_u32 v47, 0xa0a0a0a1, v12
	v_mad_co_u64_u32 v[37:38], null, s8, v49, 0
	v_add_nc_u32_e32 v48, 0x198, v0
	v_add_nc_u32_e32 v50, 0x1fe, v0
	v_lshrrev_b32_e32 v52, 8, v45
	v_lshrrev_b32_e32 v54, 8, v46
	v_mad_co_u64_u32 v[45:46], null, s9, v0, v[5:6]
	v_dual_mov_b32 v30, v32 :: v_dual_add_nc_u32 v51, 0x231, v0
	v_dual_mov_b32 v32, v34 :: v_dual_add_nc_u32 v53, 0x2ca, v0
	v_mad_co_u64_u32 v[39:40], null, s8, v50, 0
	v_lshrrev_b32_e32 v34, 8, v47
	v_mad_co_u64_u32 v[46:47], null, s9, v9, v[3:4]
	v_mov_b32_e32 v3, v38
	v_mad_co_u64_u32 v[35:36], null, s8, v48, 0
	v_mad_co_u64_u32 v[41:42], null, s8, v51, 0
	;; [unrolled: 1-line block ×4, first 2 shown]
	s_delay_alu instid0(VALU_DEP_4) | instskip(NEXT) | instid1(VALU_DEP_4)
	v_dual_mov_b32 v0, v36 :: v_dual_mov_b32 v5, v40
	v_mov_b32_e32 v7, v42
	v_mad_u32_u24 v57, 0x198, v54, v11
	v_mad_co_u64_u32 v[43:44], null, s8, v53, 0
	v_mad_u32_u24 v58, 0x198, v34, v12
	v_mad_co_u64_u32 v[11:12], null, s9, v48, v[0:1]
	v_mad_co_u64_u32 v[47:48], null, s9, v50, v[5:6]
	v_dual_mov_b32 v5, v45 :: v_dual_add_nc_u32 v86, 0x198, v57
	v_mad_u32_u24 v56, 0x198, v52, v10
	v_mad_co_u64_u32 v[9:10], null, s9, v13, v[32:33]
	v_mad_co_u64_u32 v[12:13], null, s9, v49, v[3:4]
	v_dual_mov_b32 v3, v46 :: v_dual_mov_b32 v32, v6
	v_lshlrev_b64_e32 v[4:5], 2, v[4:5]
	v_dual_mov_b32 v10, v44 :: v_dual_add_nc_u32 v85, 0x198, v56
	v_mad_co_u64_u32 v[48:49], null, s9, v51, v[7:8]
	v_dual_mov_b32 v30, v8 :: v_dual_add_nc_u32 v87, 0x198, v58
	v_mad_co_u64_u32 v[49:50], null, s8, v56, 0
	v_lshlrev_b64_e32 v[2:3], 2, v[2:3]
	v_mad_co_u64_u32 v[51:52], null, s8, v57, 0
	v_mad_co_u64_u32 v[53:54], null, s9, v53, v[10:11]
	v_mov_b32_e32 v34, v9
	v_mad_co_u64_u32 v[8:9], null, s8, v86, 0
	v_mov_b32_e32 v36, v11
	v_lshlrev_b64_e32 v[10:11], 2, v[29:30]
	v_add_co_u32 v4, vcc_lo, v83, v4
	v_mad_co_u64_u32 v[54:55], null, s8, v58, 0
	v_mad_co_u64_u32 v[6:7], null, s8, v85, 0
	s_wait_alu 0xfffd
	v_add_co_ci_u32_e32 v5, vcc_lo, v84, v5, vcc_lo
	v_mad_co_u64_u32 v[45:46], null, s8, v87, 0
	v_mov_b32_e32 v38, v12
	v_lshlrev_b64_e32 v[12:13], 2, v[31:32]
	v_add_co_u32 v2, vcc_lo, v83, v2
	v_mov_b32_e32 v40, v47
	v_mov_b32_e32 v42, v48
	;; [unrolled: 1-line block ×3, first 2 shown]
	s_wait_alu 0xfffd
	v_add_co_ci_u32_e32 v3, vcc_lo, v84, v3, vcc_lo
	v_mov_b32_e32 v29, v52
	v_lshlrev_b64_e32 v[30:31], 2, v[33:34]
	v_add_co_u32 v10, vcc_lo, v83, v10
	v_lshlrev_b64_e32 v[33:34], 2, v[35:36]
	s_wait_alu 0xfffd
	v_add_co_ci_u32_e32 v11, vcc_lo, v84, v11, vcc_lo
	v_mov_b32_e32 v32, v55
	v_lshlrev_b64_e32 v[35:36], 2, v[37:38]
	v_lshlrev_b64_e32 v[37:38], 2, v[39:40]
	;; [unrolled: 1-line block ×3, first 2 shown]
	v_mad_co_u64_u32 v[41:42], null, s9, v56, v[0:1]
	v_mov_b32_e32 v0, v7
	v_add_co_u32 v12, vcc_lo, v83, v12
	s_wait_alu 0xfffd
	v_add_co_ci_u32_e32 v13, vcc_lo, v84, v13, vcc_lo
	v_mad_co_u64_u32 v[47:48], null, s9, v57, v[29:30]
	v_add_co_u32 v29, vcc_lo, v83, v30
	v_mad_co_u64_u32 v[55:56], null, s9, v58, v[32:33]
	s_wait_alu 0xfffd
	v_add_co_ci_u32_e32 v30, vcc_lo, v84, v31, vcc_lo
	v_mad_co_u64_u32 v[31:32], null, s9, v85, v[0:1]
	v_add_co_u32 v32, vcc_lo, v83, v33
	v_mov_b32_e32 v44, v53
	s_wait_alu 0xfffd
	v_add_co_ci_u32_e32 v33, vcc_lo, v84, v34, vcc_lo
	v_add_co_u32 v34, vcc_lo, v83, v35
	v_mov_b32_e32 v7, v9
	v_mov_b32_e32 v9, v46
	s_wait_alu 0xfffd
	v_add_co_ci_u32_e32 v35, vcc_lo, v84, v36, vcc_lo
	v_lshlrev_b64_e32 v[42:43], 2, v[43:44]
	v_add_co_u32 v36, vcc_lo, v83, v37
	s_wait_alu 0xfffd
	v_add_co_ci_u32_e32 v37, vcc_lo, v84, v38, vcc_lo
	v_mad_co_u64_u32 v[56:57], null, s9, v86, v[7:8]
	v_add_co_u32 v38, vcc_lo, v83, v39
	v_mov_b32_e32 v50, v41
	v_mad_co_u64_u32 v[57:58], null, s9, v87, v[9:10]
	s_wait_alu 0xfffd
	v_add_co_ci_u32_e32 v39, vcc_lo, v84, v40, vcc_lo
	v_mov_b32_e32 v9, v56
	v_add_co_u32 v40, vcc_lo, v83, v42
	v_mov_b32_e32 v52, v47
	s_wait_alu 0xfffd
	v_add_co_ci_u32_e32 v41, vcc_lo, v84, v43, vcc_lo
	v_lshlrev_b64_e32 v[42:43], 2, v[49:50]
	v_mov_b32_e32 v7, v31
	v_lshlrev_b64_e32 v[47:48], 2, v[51:52]
	v_mov_b32_e32 v46, v57
	v_lshlrev_b64_e32 v[49:50], 2, v[54:55]
	v_lshlrev_b64_e32 v[8:9], 2, v[8:9]
	v_add_co_u32 v42, vcc_lo, v83, v42
	s_wait_alu 0xfffd
	v_add_co_ci_u32_e32 v43, vcc_lo, v84, v43, vcc_lo
	v_lshlrev_b64_e32 v[6:7], 2, v[6:7]
	v_lshlrev_b64_e32 v[44:45], 2, v[45:46]
	v_add_co_u32 v46, vcc_lo, v83, v47
	s_wait_alu 0xfffd
	v_add_co_ci_u32_e32 v47, vcc_lo, v84, v48, vcc_lo
	v_add_co_u32 v48, vcc_lo, v83, v49
	s_wait_alu 0xfffd
	v_add_co_ci_u32_e32 v49, vcc_lo, v84, v50, vcc_lo
	;; [unrolled: 3-line block ×5, first 2 shown]
	s_wait_loadcnt 0x7
	v_lshrrev_b32_e32 v0, 16, v59
	s_wait_loadcnt 0x6
	v_lshrrev_b32_e32 v31, 16, v60
	;; [unrolled: 2-line block ×8, first 2 shown]
	s_wait_dscnt 0xf
	v_mul_f16_e32 v56, v0, v67
	v_mul_f16_e32 v0, v28, v0
	s_wait_dscnt 0xa
	v_mul_f16_e32 v85, v53, v72
	s_wait_dscnt 0x9
	;; [unrolled: 2-line block ×3, first 2 shown]
	v_mul_f16_e32 v87, v55, v74
	v_mul_f16_e32 v55, v21, v55
	;; [unrolled: 1-line block ×12, first 2 shown]
	v_fmac_f16_e32 v87, v21, v66
	v_fma_f16 v21, v66, v74, -v55
	v_fmac_f16_e32 v86, v22, v65
	v_fma_f16 v22, v65, v73, -v54
	;; [unrolled: 2-line block ×8, first 2 shown]
	v_sub_f16_e32 v55, v1, v87
	s_wait_dscnt 0x0
	v_sub_f16_e32 v21, v82, v21
	v_sub_f16_e32 v54, v14, v86
	;; [unrolled: 1-line block ×15, first 2 shown]
	v_fma_f16 v1, v1, 2.0, -v55
	v_fma_f16 v63, v82, 2.0, -v21
	;; [unrolled: 1-line block ×16, first 2 shown]
	v_pack_b32_f16 v1, v1, v63
	v_pack_b32_f16 v21, v55, v21
	;; [unrolled: 1-line block ×16, first 2 shown]
	s_clause 0xf
	global_store_b32 v[4:5], v1, off
	global_store_b32 v[32:33], v21, off
	global_store_b32 v[2:3], v14, off
	global_store_b32 v[34:35], v22, off
	global_store_b32 v[10:11], v15, off
	global_store_b32 v[36:37], v23, off
	global_store_b32 v[12:13], v16, off
	global_store_b32 v[38:39], v24, off
	global_store_b32 v[42:43], v17, off
	global_store_b32 v[6:7], v25, off
	global_store_b32 v[46:47], v18, off
	global_store_b32 v[8:9], v26, off
	global_store_b32 v[29:30], v19, off
	global_store_b32 v[40:41], v27, off
	global_store_b32 v[48:49], v20, off
	global_store_b32 v[44:45], v0, off
.LBB0_25:
	s_nop 0
	s_sendmsg sendmsg(MSG_DEALLOC_VGPRS)
	s_endpgm
	.section	.rodata,"a",@progbits
	.p2align	6, 0x0
	.amdhsa_kernel fft_rtc_back_len816_factors_17_2_3_2_2_2_wgs_51_tpt_51_halfLds_half_ip_CI_sbrr_dirReg
		.amdhsa_group_segment_fixed_size 0
		.amdhsa_private_segment_fixed_size 0
		.amdhsa_kernarg_size 88
		.amdhsa_user_sgpr_count 2
		.amdhsa_user_sgpr_dispatch_ptr 0
		.amdhsa_user_sgpr_queue_ptr 0
		.amdhsa_user_sgpr_kernarg_segment_ptr 1
		.amdhsa_user_sgpr_dispatch_id 0
		.amdhsa_user_sgpr_private_segment_size 0
		.amdhsa_wavefront_size32 1
		.amdhsa_uses_dynamic_stack 0
		.amdhsa_enable_private_segment 0
		.amdhsa_system_sgpr_workgroup_id_x 1
		.amdhsa_system_sgpr_workgroup_id_y 0
		.amdhsa_system_sgpr_workgroup_id_z 0
		.amdhsa_system_sgpr_workgroup_info 0
		.amdhsa_system_vgpr_workitem_id 0
		.amdhsa_next_free_vgpr 103
		.amdhsa_next_free_sgpr 35
		.amdhsa_reserve_vcc 1
		.amdhsa_float_round_mode_32 0
		.amdhsa_float_round_mode_16_64 0
		.amdhsa_float_denorm_mode_32 3
		.amdhsa_float_denorm_mode_16_64 3
		.amdhsa_fp16_overflow 0
		.amdhsa_workgroup_processor_mode 1
		.amdhsa_memory_ordered 1
		.amdhsa_forward_progress 0
		.amdhsa_round_robin_scheduling 0
		.amdhsa_exception_fp_ieee_invalid_op 0
		.amdhsa_exception_fp_denorm_src 0
		.amdhsa_exception_fp_ieee_div_zero 0
		.amdhsa_exception_fp_ieee_overflow 0
		.amdhsa_exception_fp_ieee_underflow 0
		.amdhsa_exception_fp_ieee_inexact 0
		.amdhsa_exception_int_div_zero 0
	.end_amdhsa_kernel
	.text
.Lfunc_end0:
	.size	fft_rtc_back_len816_factors_17_2_3_2_2_2_wgs_51_tpt_51_halfLds_half_ip_CI_sbrr_dirReg, .Lfunc_end0-fft_rtc_back_len816_factors_17_2_3_2_2_2_wgs_51_tpt_51_halfLds_half_ip_CI_sbrr_dirReg
                                        ; -- End function
	.section	.AMDGPU.csdata,"",@progbits
; Kernel info:
; codeLenInByte = 15696
; NumSgprs: 37
; NumVgprs: 103
; ScratchSize: 0
; MemoryBound: 0
; FloatMode: 240
; IeeeMode: 1
; LDSByteSize: 0 bytes/workgroup (compile time only)
; SGPRBlocks: 4
; VGPRBlocks: 12
; NumSGPRsForWavesPerEU: 37
; NumVGPRsForWavesPerEU: 103
; Occupancy: 12
; WaveLimiterHint : 1
; COMPUTE_PGM_RSRC2:SCRATCH_EN: 0
; COMPUTE_PGM_RSRC2:USER_SGPR: 2
; COMPUTE_PGM_RSRC2:TRAP_HANDLER: 0
; COMPUTE_PGM_RSRC2:TGID_X_EN: 1
; COMPUTE_PGM_RSRC2:TGID_Y_EN: 0
; COMPUTE_PGM_RSRC2:TGID_Z_EN: 0
; COMPUTE_PGM_RSRC2:TIDIG_COMP_CNT: 0
	.text
	.p2alignl 7, 3214868480
	.fill 96, 4, 3214868480
	.type	__hip_cuid_5b0681dc3ccda258,@object ; @__hip_cuid_5b0681dc3ccda258
	.section	.bss,"aw",@nobits
	.globl	__hip_cuid_5b0681dc3ccda258
__hip_cuid_5b0681dc3ccda258:
	.byte	0                               ; 0x0
	.size	__hip_cuid_5b0681dc3ccda258, 1

	.ident	"AMD clang version 19.0.0git (https://github.com/RadeonOpenCompute/llvm-project roc-6.4.0 25133 c7fe45cf4b819c5991fe208aaa96edf142730f1d)"
	.section	".note.GNU-stack","",@progbits
	.addrsig
	.addrsig_sym __hip_cuid_5b0681dc3ccda258
	.amdgpu_metadata
---
amdhsa.kernels:
  - .args:
      - .actual_access:  read_only
        .address_space:  global
        .offset:         0
        .size:           8
        .value_kind:     global_buffer
      - .offset:         8
        .size:           8
        .value_kind:     by_value
      - .actual_access:  read_only
        .address_space:  global
        .offset:         16
        .size:           8
        .value_kind:     global_buffer
      - .actual_access:  read_only
        .address_space:  global
        .offset:         24
        .size:           8
        .value_kind:     global_buffer
      - .offset:         32
        .size:           8
        .value_kind:     by_value
      - .actual_access:  read_only
        .address_space:  global
        .offset:         40
        .size:           8
        .value_kind:     global_buffer
      - .actual_access:  read_only
        .address_space:  global
        .offset:         48
        .size:           8
        .value_kind:     global_buffer
      - .offset:         56
        .size:           4
        .value_kind:     by_value
      - .actual_access:  read_only
        .address_space:  global
        .offset:         64
        .size:           8
        .value_kind:     global_buffer
      - .actual_access:  read_only
        .address_space:  global
        .offset:         72
        .size:           8
        .value_kind:     global_buffer
      - .address_space:  global
        .offset:         80
        .size:           8
        .value_kind:     global_buffer
    .group_segment_fixed_size: 0
    .kernarg_segment_align: 8
    .kernarg_segment_size: 88
    .language:       OpenCL C
    .language_version:
      - 2
      - 0
    .max_flat_workgroup_size: 51
    .name:           fft_rtc_back_len816_factors_17_2_3_2_2_2_wgs_51_tpt_51_halfLds_half_ip_CI_sbrr_dirReg
    .private_segment_fixed_size: 0
    .sgpr_count:     37
    .sgpr_spill_count: 0
    .symbol:         fft_rtc_back_len816_factors_17_2_3_2_2_2_wgs_51_tpt_51_halfLds_half_ip_CI_sbrr_dirReg.kd
    .uniform_work_group_size: 1
    .uses_dynamic_stack: false
    .vgpr_count:     103
    .vgpr_spill_count: 0
    .wavefront_size: 32
    .workgroup_processor_mode: 1
amdhsa.target:   amdgcn-amd-amdhsa--gfx1201
amdhsa.version:
  - 1
  - 2
...

	.end_amdgpu_metadata
